;; amdgpu-corpus repo=ROCm/rocFFT kind=compiled arch=gfx1201 opt=O3
	.text
	.amdgcn_target "amdgcn-amd-amdhsa--gfx1201"
	.amdhsa_code_object_version 6
	.protected	fft_rtc_fwd_len3240_factors_3_3_10_6_6_wgs_108_tpt_108_halfLds_half_op_CI_CI_unitstride_sbrr_R2C_dirReg ; -- Begin function fft_rtc_fwd_len3240_factors_3_3_10_6_6_wgs_108_tpt_108_halfLds_half_op_CI_CI_unitstride_sbrr_R2C_dirReg
	.globl	fft_rtc_fwd_len3240_factors_3_3_10_6_6_wgs_108_tpt_108_halfLds_half_op_CI_CI_unitstride_sbrr_R2C_dirReg
	.p2align	8
	.type	fft_rtc_fwd_len3240_factors_3_3_10_6_6_wgs_108_tpt_108_halfLds_half_op_CI_CI_unitstride_sbrr_R2C_dirReg,@function
fft_rtc_fwd_len3240_factors_3_3_10_6_6_wgs_108_tpt_108_halfLds_half_op_CI_CI_unitstride_sbrr_R2C_dirReg: ; @fft_rtc_fwd_len3240_factors_3_3_10_6_6_wgs_108_tpt_108_halfLds_half_op_CI_CI_unitstride_sbrr_R2C_dirReg
; %bb.0:
	s_clause 0x2
	s_load_b128 s[8:11], s[0:1], 0x0
	s_load_b128 s[4:7], s[0:1], 0x58
	;; [unrolled: 1-line block ×3, first 2 shown]
	v_mul_u32_u24_e32 v1, 0x25f, v0
	v_mov_b32_e32 v3, 0
	s_delay_alu instid0(VALU_DEP_2) | instskip(NEXT) | instid1(VALU_DEP_1)
	v_lshrrev_b32_e32 v1, 16, v1
	v_add_nc_u32_e32 v5, ttmp9, v1
	v_mov_b32_e32 v1, 0
	v_mov_b32_e32 v2, 0
	;; [unrolled: 1-line block ×3, first 2 shown]
	s_wait_kmcnt 0x0
	v_cmp_lt_u64_e64 s2, s[10:11], 2
	s_delay_alu instid0(VALU_DEP_1)
	s_and_b32 vcc_lo, exec_lo, s2
	s_cbranch_vccnz .LBB0_8
; %bb.1:
	s_load_b64 s[2:3], s[0:1], 0x10
	v_mov_b32_e32 v1, 0
	v_mov_b32_e32 v2, 0
	s_add_nc_u64 s[16:17], s[14:15], 8
	s_add_nc_u64 s[18:19], s[12:13], 8
	s_mov_b64 s[20:21], 1
	s_delay_alu instid0(VALU_DEP_1)
	v_dual_mov_b32 v27, v2 :: v_dual_mov_b32 v26, v1
	s_wait_kmcnt 0x0
	s_add_nc_u64 s[22:23], s[2:3], 8
	s_mov_b32 s3, 0
.LBB0_2:                                ; =>This Inner Loop Header: Depth=1
	s_load_b64 s[24:25], s[22:23], 0x0
                                        ; implicit-def: $vgpr30_vgpr31
	s_mov_b32 s2, exec_lo
	s_wait_kmcnt 0x0
	v_or_b32_e32 v4, s25, v6
	s_delay_alu instid0(VALU_DEP_1)
	v_cmpx_ne_u64_e32 0, v[3:4]
	s_wait_alu 0xfffe
	s_xor_b32 s26, exec_lo, s2
	s_cbranch_execz .LBB0_4
; %bb.3:                                ;   in Loop: Header=BB0_2 Depth=1
	s_cvt_f32_u32 s2, s24
	s_cvt_f32_u32 s27, s25
	s_sub_nc_u64 s[30:31], 0, s[24:25]
	s_wait_alu 0xfffe
	s_delay_alu instid0(SALU_CYCLE_1) | instskip(SKIP_1) | instid1(SALU_CYCLE_2)
	s_fmamk_f32 s2, s27, 0x4f800000, s2
	s_wait_alu 0xfffe
	v_s_rcp_f32 s2, s2
	s_delay_alu instid0(TRANS32_DEP_1) | instskip(SKIP_1) | instid1(SALU_CYCLE_2)
	s_mul_f32 s2, s2, 0x5f7ffffc
	s_wait_alu 0xfffe
	s_mul_f32 s27, s2, 0x2f800000
	s_wait_alu 0xfffe
	s_delay_alu instid0(SALU_CYCLE_2) | instskip(SKIP_1) | instid1(SALU_CYCLE_2)
	s_trunc_f32 s27, s27
	s_wait_alu 0xfffe
	s_fmamk_f32 s2, s27, 0xcf800000, s2
	s_cvt_u32_f32 s29, s27
	s_wait_alu 0xfffe
	s_delay_alu instid0(SALU_CYCLE_1) | instskip(SKIP_1) | instid1(SALU_CYCLE_2)
	s_cvt_u32_f32 s28, s2
	s_wait_alu 0xfffe
	s_mul_u64 s[34:35], s[30:31], s[28:29]
	s_wait_alu 0xfffe
	s_mul_hi_u32 s37, s28, s35
	s_mul_i32 s36, s28, s35
	s_mul_hi_u32 s2, s28, s34
	s_mul_i32 s33, s29, s34
	s_wait_alu 0xfffe
	s_add_nc_u64 s[36:37], s[2:3], s[36:37]
	s_mul_hi_u32 s27, s29, s34
	s_mul_hi_u32 s38, s29, s35
	s_add_co_u32 s2, s36, s33
	s_wait_alu 0xfffe
	s_add_co_ci_u32 s2, s37, s27
	s_mul_i32 s34, s29, s35
	s_add_co_ci_u32 s35, s38, 0
	s_wait_alu 0xfffe
	s_add_nc_u64 s[34:35], s[2:3], s[34:35]
	s_wait_alu 0xfffe
	v_add_co_u32 v4, s2, s28, s34
	s_delay_alu instid0(VALU_DEP_1) | instskip(SKIP_1) | instid1(VALU_DEP_1)
	s_cmp_lg_u32 s2, 0
	s_add_co_ci_u32 s29, s29, s35
	v_readfirstlane_b32 s28, v4
	s_wait_alu 0xfffe
	s_delay_alu instid0(VALU_DEP_1)
	s_mul_u64 s[30:31], s[30:31], s[28:29]
	s_wait_alu 0xfffe
	s_mul_hi_u32 s35, s28, s31
	s_mul_i32 s34, s28, s31
	s_mul_hi_u32 s2, s28, s30
	s_mul_i32 s33, s29, s30
	s_wait_alu 0xfffe
	s_add_nc_u64 s[34:35], s[2:3], s[34:35]
	s_mul_hi_u32 s27, s29, s30
	s_mul_hi_u32 s28, s29, s31
	s_wait_alu 0xfffe
	s_add_co_u32 s2, s34, s33
	s_add_co_ci_u32 s2, s35, s27
	s_mul_i32 s30, s29, s31
	s_add_co_ci_u32 s31, s28, 0
	s_wait_alu 0xfffe
	s_add_nc_u64 s[30:31], s[2:3], s[30:31]
	s_wait_alu 0xfffe
	v_add_co_u32 v4, s2, v4, s30
	s_delay_alu instid0(VALU_DEP_1) | instskip(SKIP_1) | instid1(VALU_DEP_1)
	s_cmp_lg_u32 s2, 0
	s_add_co_ci_u32 s2, s29, s31
	v_mul_hi_u32 v13, v5, v4
	s_wait_alu 0xfffe
	v_mad_co_u64_u32 v[7:8], null, v5, s2, 0
	v_mad_co_u64_u32 v[9:10], null, v6, v4, 0
	;; [unrolled: 1-line block ×3, first 2 shown]
	s_delay_alu instid0(VALU_DEP_3) | instskip(SKIP_1) | instid1(VALU_DEP_4)
	v_add_co_u32 v4, vcc_lo, v13, v7
	s_wait_alu 0xfffd
	v_add_co_ci_u32_e32 v7, vcc_lo, 0, v8, vcc_lo
	s_delay_alu instid0(VALU_DEP_2) | instskip(SKIP_1) | instid1(VALU_DEP_2)
	v_add_co_u32 v4, vcc_lo, v4, v9
	s_wait_alu 0xfffd
	v_add_co_ci_u32_e32 v4, vcc_lo, v7, v10, vcc_lo
	s_wait_alu 0xfffd
	v_add_co_ci_u32_e32 v7, vcc_lo, 0, v12, vcc_lo
	s_delay_alu instid0(VALU_DEP_2) | instskip(SKIP_1) | instid1(VALU_DEP_2)
	v_add_co_u32 v4, vcc_lo, v4, v11
	s_wait_alu 0xfffd
	v_add_co_ci_u32_e32 v9, vcc_lo, 0, v7, vcc_lo
	s_delay_alu instid0(VALU_DEP_2) | instskip(SKIP_1) | instid1(VALU_DEP_3)
	v_mul_lo_u32 v10, s25, v4
	v_mad_co_u64_u32 v[7:8], null, s24, v4, 0
	v_mul_lo_u32 v11, s24, v9
	s_delay_alu instid0(VALU_DEP_2) | instskip(NEXT) | instid1(VALU_DEP_2)
	v_sub_co_u32 v7, vcc_lo, v5, v7
	v_add3_u32 v8, v8, v11, v10
	s_delay_alu instid0(VALU_DEP_1) | instskip(SKIP_1) | instid1(VALU_DEP_1)
	v_sub_nc_u32_e32 v10, v6, v8
	s_wait_alu 0xfffd
	v_subrev_co_ci_u32_e64 v10, s2, s25, v10, vcc_lo
	v_add_co_u32 v11, s2, v4, 2
	s_wait_alu 0xf1ff
	v_add_co_ci_u32_e64 v12, s2, 0, v9, s2
	v_sub_co_u32 v13, s2, v7, s24
	v_sub_co_ci_u32_e32 v8, vcc_lo, v6, v8, vcc_lo
	s_wait_alu 0xf1ff
	v_subrev_co_ci_u32_e64 v10, s2, 0, v10, s2
	s_delay_alu instid0(VALU_DEP_3) | instskip(NEXT) | instid1(VALU_DEP_3)
	v_cmp_le_u32_e32 vcc_lo, s24, v13
	v_cmp_eq_u32_e64 s2, s25, v8
	s_wait_alu 0xfffd
	v_cndmask_b32_e64 v13, 0, -1, vcc_lo
	v_cmp_le_u32_e32 vcc_lo, s25, v10
	s_wait_alu 0xfffd
	v_cndmask_b32_e64 v14, 0, -1, vcc_lo
	v_cmp_le_u32_e32 vcc_lo, s24, v7
	;; [unrolled: 3-line block ×3, first 2 shown]
	s_wait_alu 0xfffd
	v_cndmask_b32_e64 v15, 0, -1, vcc_lo
	v_cmp_eq_u32_e32 vcc_lo, s25, v10
	s_wait_alu 0xf1ff
	s_delay_alu instid0(VALU_DEP_2)
	v_cndmask_b32_e64 v7, v15, v7, s2
	s_wait_alu 0xfffd
	v_cndmask_b32_e32 v10, v14, v13, vcc_lo
	v_add_co_u32 v13, vcc_lo, v4, 1
	s_wait_alu 0xfffd
	v_add_co_ci_u32_e32 v14, vcc_lo, 0, v9, vcc_lo
	s_delay_alu instid0(VALU_DEP_3) | instskip(SKIP_1) | instid1(VALU_DEP_2)
	v_cmp_ne_u32_e32 vcc_lo, 0, v10
	s_wait_alu 0xfffd
	v_cndmask_b32_e32 v8, v14, v12, vcc_lo
	v_cndmask_b32_e32 v10, v13, v11, vcc_lo
	v_cmp_ne_u32_e32 vcc_lo, 0, v7
	s_wait_alu 0xfffd
	s_delay_alu instid0(VALU_DEP_2)
	v_dual_cndmask_b32 v31, v9, v8 :: v_dual_cndmask_b32 v30, v4, v10
.LBB0_4:                                ;   in Loop: Header=BB0_2 Depth=1
	s_wait_alu 0xfffe
	s_and_not1_saveexec_b32 s2, s26
	s_cbranch_execz .LBB0_6
; %bb.5:                                ;   in Loop: Header=BB0_2 Depth=1
	v_cvt_f32_u32_e32 v4, s24
	s_sub_co_i32 s26, 0, s24
	v_mov_b32_e32 v31, v3
	s_delay_alu instid0(VALU_DEP_2) | instskip(NEXT) | instid1(TRANS32_DEP_1)
	v_rcp_iflag_f32_e32 v4, v4
	v_mul_f32_e32 v4, 0x4f7ffffe, v4
	s_delay_alu instid0(VALU_DEP_1) | instskip(SKIP_1) | instid1(VALU_DEP_1)
	v_cvt_u32_f32_e32 v4, v4
	s_wait_alu 0xfffe
	v_mul_lo_u32 v7, s26, v4
	s_delay_alu instid0(VALU_DEP_1) | instskip(NEXT) | instid1(VALU_DEP_1)
	v_mul_hi_u32 v7, v4, v7
	v_add_nc_u32_e32 v4, v4, v7
	s_delay_alu instid0(VALU_DEP_1) | instskip(NEXT) | instid1(VALU_DEP_1)
	v_mul_hi_u32 v4, v5, v4
	v_mul_lo_u32 v7, v4, s24
	v_add_nc_u32_e32 v8, 1, v4
	s_delay_alu instid0(VALU_DEP_2) | instskip(NEXT) | instid1(VALU_DEP_1)
	v_sub_nc_u32_e32 v7, v5, v7
	v_subrev_nc_u32_e32 v9, s24, v7
	v_cmp_le_u32_e32 vcc_lo, s24, v7
	s_wait_alu 0xfffd
	s_delay_alu instid0(VALU_DEP_2) | instskip(NEXT) | instid1(VALU_DEP_1)
	v_dual_cndmask_b32 v7, v7, v9 :: v_dual_cndmask_b32 v4, v4, v8
	v_cmp_le_u32_e32 vcc_lo, s24, v7
	s_delay_alu instid0(VALU_DEP_2) | instskip(SKIP_1) | instid1(VALU_DEP_1)
	v_add_nc_u32_e32 v8, 1, v4
	s_wait_alu 0xfffd
	v_cndmask_b32_e32 v30, v4, v8, vcc_lo
.LBB0_6:                                ;   in Loop: Header=BB0_2 Depth=1
	s_wait_alu 0xfffe
	s_or_b32 exec_lo, exec_lo, s2
	v_mul_lo_u32 v4, v31, s24
	s_delay_alu instid0(VALU_DEP_2)
	v_mul_lo_u32 v9, v30, s25
	s_load_b64 s[26:27], s[18:19], 0x0
	v_mad_co_u64_u32 v[7:8], null, v30, s24, 0
	s_load_b64 s[24:25], s[16:17], 0x0
	s_add_nc_u64 s[20:21], s[20:21], 1
	s_add_nc_u64 s[16:17], s[16:17], 8
	s_wait_alu 0xfffe
	v_cmp_ge_u64_e64 s2, s[20:21], s[10:11]
	s_add_nc_u64 s[18:19], s[18:19], 8
	s_add_nc_u64 s[22:23], s[22:23], 8
	v_add3_u32 v4, v8, v9, v4
	v_sub_co_u32 v5, vcc_lo, v5, v7
	s_wait_alu 0xfffd
	s_delay_alu instid0(VALU_DEP_2) | instskip(SKIP_2) | instid1(VALU_DEP_1)
	v_sub_co_ci_u32_e32 v4, vcc_lo, v6, v4, vcc_lo
	s_and_b32 vcc_lo, exec_lo, s2
	s_wait_kmcnt 0x0
	v_mul_lo_u32 v6, s26, v4
	v_mul_lo_u32 v7, s27, v5
	v_mad_co_u64_u32 v[1:2], null, s26, v5, v[1:2]
	v_mul_lo_u32 v4, s24, v4
	v_mul_lo_u32 v8, s25, v5
	v_mad_co_u64_u32 v[26:27], null, s24, v5, v[26:27]
	s_delay_alu instid0(VALU_DEP_4) | instskip(NEXT) | instid1(VALU_DEP_2)
	v_add3_u32 v2, v7, v2, v6
	v_add3_u32 v27, v8, v27, v4
	s_wait_alu 0xfffe
	s_cbranch_vccnz .LBB0_9
; %bb.7:                                ;   in Loop: Header=BB0_2 Depth=1
	v_dual_mov_b32 v5, v30 :: v_dual_mov_b32 v6, v31
	s_branch .LBB0_2
.LBB0_8:
	v_dual_mov_b32 v27, v2 :: v_dual_mov_b32 v26, v1
	v_dual_mov_b32 v31, v6 :: v_dual_mov_b32 v30, v5
.LBB0_9:
	s_load_b64 s[0:1], s[0:1], 0x28
	v_mul_hi_u32 v3, 0x25ed098, v0
	s_lshl_b64 s[10:11], s[10:11], 3
                                        ; implicit-def: $vgpr24
                                        ; implicit-def: $vgpr28
                                        ; implicit-def: $vgpr40
                                        ; implicit-def: $vgpr39
                                        ; implicit-def: $vgpr38
                                        ; implicit-def: $vgpr37
                                        ; implicit-def: $vgpr36
                                        ; implicit-def: $vgpr33
                                        ; implicit-def: $vgpr35
                                        ; implicit-def: $vgpr32
	s_wait_kmcnt 0x0
	v_cmp_gt_u64_e32 vcc_lo, s[0:1], v[30:31]
	v_cmp_le_u64_e64 s0, s[0:1], v[30:31]
	s_delay_alu instid0(VALU_DEP_1)
	s_and_saveexec_b32 s1, s0
	s_wait_alu 0xfffe
	s_xor_b32 s0, exec_lo, s1
; %bb.10:
	v_mul_u32_u24_e32 v1, 0x6c, v3
                                        ; implicit-def: $vgpr3
	s_delay_alu instid0(VALU_DEP_1) | instskip(NEXT) | instid1(VALU_DEP_1)
	v_sub_nc_u32_e32 v24, v0, v1
                                        ; implicit-def: $vgpr0
                                        ; implicit-def: $vgpr1_vgpr2
	v_add_nc_u32_e32 v28, 0x6c, v24
	v_add_nc_u32_e32 v40, 0xd8, v24
	;; [unrolled: 1-line block ×9, first 2 shown]
; %bb.11:
	s_wait_alu 0xfffe
	s_or_saveexec_b32 s1, s0
	s_add_nc_u64 s[2:3], s[14:15], s[10:11]
	s_wait_alu 0xfffe
	s_xor_b32 exec_lo, exec_lo, s1
	s_cbranch_execz .LBB0_13
; %bb.12:
	s_add_nc_u64 s[10:11], s[12:13], s[10:11]
	v_lshlrev_b64_e32 v[1:2], 2, v[1:2]
	s_load_b64 s[10:11], s[10:11], 0x0
	s_wait_kmcnt 0x0
	v_mul_lo_u32 v6, s11, v30
	v_mul_lo_u32 v7, s10, v31
	v_mad_co_u64_u32 v[4:5], null, s10, v30, 0
	s_delay_alu instid0(VALU_DEP_1) | instskip(SKIP_1) | instid1(VALU_DEP_2)
	v_add3_u32 v5, v5, v7, v6
	v_mul_u32_u24_e32 v6, 0x6c, v3
	v_lshlrev_b64_e32 v[3:4], 2, v[4:5]
	s_delay_alu instid0(VALU_DEP_2) | instskip(NEXT) | instid1(VALU_DEP_1)
	v_sub_nc_u32_e32 v24, v0, v6
	v_add_nc_u32_e32 v28, 0x6c, v24
	s_delay_alu instid0(VALU_DEP_3) | instskip(SKIP_1) | instid1(VALU_DEP_4)
	v_add_co_u32 v0, s0, s4, v3
	s_wait_alu 0xf1ff
	v_add_co_ci_u32_e64 v3, s0, s5, v4, s0
	v_lshlrev_b32_e32 v4, 2, v24
	s_delay_alu instid0(VALU_DEP_3) | instskip(SKIP_1) | instid1(VALU_DEP_3)
	v_add_co_u32 v0, s0, v0, v1
	s_wait_alu 0xf1ff
	v_add_co_ci_u32_e64 v1, s0, v3, v2, s0
	v_add_nc_u32_e32 v40, 0xd8, v24
	s_delay_alu instid0(VALU_DEP_3) | instskip(SKIP_1) | instid1(VALU_DEP_3)
	v_add_co_u32 v0, s0, v0, v4
	s_wait_alu 0xf1ff
	v_add_co_ci_u32_e64 v1, s0, 0, v1, s0
	s_clause 0x1d
	global_load_b32 v2, v[0:1], off
	global_load_b32 v3, v[0:1], off offset:432
	global_load_b32 v5, v[0:1], off offset:864
	;; [unrolled: 1-line block ×29, first 2 shown]
	v_add_nc_u32_e32 v1, 0, v4
	v_add_nc_u32_e32 v39, 0x144, v24
	;; [unrolled: 1-line block ×22, first 2 shown]
	s_wait_loadcnt 0x1c
	ds_store_2addr_b32 v1, v2, v3 offset1:108
	s_wait_loadcnt 0x1a
	ds_store_2addr_b32 v4, v5, v6 offset0:88 offset1:196
	s_wait_loadcnt 0x18
	ds_store_2addr_b32 v46, v7, v8 offset0:48 offset1:156
	;; [unrolled: 2-line block ×14, first 2 shown]
.LBB0_13:
	s_or_b32 exec_lo, exec_lo, s1
	v_lshlrev_b32_e32 v25, 2, v24
	s_load_b64 s[2:3], s[2:3], 0x0
	global_wb scope:SCOPE_SE
	s_wait_dscnt 0x0
	s_wait_kmcnt 0x0
	s_barrier_signal -1
	s_barrier_wait -1
	v_add_nc_u32_e32 v51, 0, v25
	global_inv scope:SCOPE_SE
	v_mad_u32_u24 v48, v24, 12, 0
	v_mad_i32_i24 v49, v28, 12, 0
	v_mad_i32_i24 v59, v40, 12, 0
	v_add_nc_u32_e32 v63, 0xc00, v51
	v_add_nc_u32_e32 v41, 0x600, v51
	;; [unrolled: 1-line block ×14, first 2 shown]
	ds_load_2addr_b32 v[0:1], v63 offset0:96 offset1:204
	ds_load_2addr_b32 v[2:3], v62 offset0:24 offset1:132
	;; [unrolled: 1-line block ×12, first 2 shown]
	ds_load_2addr_b32 v[42:43], v51 offset1:108
	ds_load_2addr_b32 v[44:45], v69 offset0:56 offset1:164
	ds_load_2addr_b32 v[46:47], v70 offset0:112 offset1:220
	global_wb scope:SCOPE_SE
	s_wait_dscnt 0x0
	s_barrier_signal -1
	s_barrier_wait -1
	global_inv scope:SCOPE_SE
	v_mad_i32_i24 v58, v39, 12, 0
	v_mad_i32_i24 v57, v38, 12, 0
	;; [unrolled: 1-line block ×5, first 2 shown]
	v_and_b32_e32 v86, 0xff, v28
	v_pk_add_f16 v61, v0, v2
	v_pk_add_f16 v50, v1, v3
	v_and_b32_e32 v85, 0xffff, v40
	v_pk_add_f16 v72, v6, v8
	v_pk_add_f16 v74, v10, v12
	;; [unrolled: 1-line block ×7, first 2 shown]
	v_pk_add_f16 v44, v44, v46 neg_lo:[0,1] neg_hi:[0,1]
	v_pk_add_f16 v77, v43, v45
	v_pk_add_f16 v76, v76, v22
	v_pk_add_f16 v46, v78, v46
	v_pk_fma_f16 v42, v79, 0.5, v42 op_sel_hi:[1,0,1] neg_lo:[1,0,0] neg_hi:[1,0,0]
	v_pk_mul_f16 v44, 0x3aee, v44 op_sel_hi:[0,1]
	v_pk_add_f16 v78, v45, v47
	v_pk_add_f16 v45, v45, v47 neg_lo:[0,1] neg_hi:[0,1]
	v_pk_add_f16 v77, v77, v47
	v_pk_add_f16 v75, v75, v23
	v_pk_add_f16 v47, v42, v44 op_sel:[0,1] op_sel_hi:[1,0]
	v_pk_add_f16 v42, v42, v44 op_sel:[0,1] op_sel_hi:[1,0] neg_lo:[0,1] neg_hi:[0,1]
	v_pk_fma_f16 v43, v78, 0.5, v43 op_sel_hi:[1,0,1] neg_lo:[1,0,0] neg_hi:[1,0,0]
	v_pk_mul_f16 v44, 0x3aee, v45 op_sel_hi:[0,1]
	v_pk_add_f16 v78, v16, v22
	v_pk_add_f16 v16, v16, v22 neg_lo:[0,1] neg_hi:[0,1]
	v_bfi_b32 v45, 0xffff, v47, v42
	v_bfi_b32 v42, 0xffff, v42, v47
	v_pk_add_f16 v47, v43, v44 op_sel:[0,1] op_sel_hi:[1,0]
	v_pk_add_f16 v22, v43, v44 op_sel:[0,1] op_sel_hi:[1,0] neg_lo:[0,1] neg_hi:[0,1]
	v_pk_fma_f16 v14, v78, 0.5, v14 op_sel_hi:[1,0,1] neg_lo:[1,0,0] neg_hi:[1,0,0]
	v_pk_mul_f16 v16, 0x3aee, v16 op_sel_hi:[0,1]
	v_pk_add_f16 v43, v17, v23
	v_pk_add_f16 v17, v17, v23 neg_lo:[0,1] neg_hi:[0,1]
	ds_store_2addr_b32 v48, v46, v45 offset1:1
	ds_store_b32 v48, v42 offset:8
	v_bfi_b32 v42, 0xffff, v47, v22
	v_pk_add_f16 v23, v14, v16 op_sel:[0,1] op_sel_hi:[1,0]
	v_pk_add_f16 v14, v14, v16 op_sel:[0,1] op_sel_hi:[1,0] neg_lo:[0,1] neg_hi:[0,1]
	v_pk_fma_f16 v15, v43, 0.5, v15 op_sel_hi:[1,0,1] neg_lo:[1,0,0] neg_hi:[1,0,0]
	v_pk_mul_f16 v16, 0x3aee, v17 op_sel_hi:[0,1]
	v_bfi_b32 v22, 0xffff, v22, v47
	ds_store_2addr_b32 v49, v77, v42 offset1:1
	ds_store_b32 v49, v22 offset:8
	v_bfi_b32 v17, 0xffff, v23, v14
	v_bfi_b32 v14, 0xffff, v14, v23
	v_pk_add_f16 v22, v15, v16 op_sel:[0,1] op_sel_hi:[1,0]
	v_pk_add_f16 v23, v12, v20
	v_pk_add_f16 v12, v12, v20 neg_lo:[0,1] neg_hi:[0,1]
	v_pk_add_f16 v15, v15, v16 op_sel:[0,1] op_sel_hi:[1,0] neg_lo:[0,1] neg_hi:[0,1]
	ds_store_2addr_b32 v59, v76, v17 offset1:1
	ds_store_b32 v59, v14 offset:8
	v_pk_add_f16 v16, v13, v21
	v_pk_fma_f16 v10, v23, 0.5, v10 op_sel_hi:[1,0,1] neg_lo:[1,0,0] neg_hi:[1,0,0]
	v_pk_mul_f16 v12, 0x3aee, v12 op_sel_hi:[0,1]
	v_bfi_b32 v14, 0xffff, v22, v15
	v_pk_add_f16 v13, v13, v21 neg_lo:[0,1] neg_hi:[0,1]
	v_bfi_b32 v15, 0xffff, v15, v22
	v_pk_fma_f16 v11, v16, 0.5, v11 op_sel_hi:[1,0,1] neg_lo:[1,0,0] neg_hi:[1,0,0]
	v_pk_add_f16 v17, v10, v12 op_sel:[0,1] op_sel_hi:[1,0]
	v_pk_add_f16 v10, v10, v12 op_sel:[0,1] op_sel_hi:[1,0] neg_lo:[0,1] neg_hi:[0,1]
	v_pk_mul_f16 v12, 0x3aee, v13 op_sel_hi:[0,1]
	ds_store_2addr_b32 v58, v75, v14 offset1:1
	ds_store_b32 v58, v15 offset:8
	v_pk_add_f16 v15, v8, v18
	v_pk_add_f16 v8, v8, v18 neg_lo:[0,1] neg_hi:[0,1]
	v_pk_add_f16 v71, v7, v9
	v_pk_add_f16 v74, v74, v20
	v_bfi_b32 v13, 0xffff, v17, v10
	v_pk_add_f16 v14, v11, v12 op_sel:[0,1] op_sel_hi:[1,0]
	v_pk_add_f16 v11, v11, v12 op_sel:[0,1] op_sel_hi:[1,0] neg_lo:[0,1] neg_hi:[0,1]
	v_pk_fma_f16 v6, v15, 0.5, v6 op_sel_hi:[1,0,1] neg_lo:[1,0,0] neg_hi:[1,0,0]
	v_pk_mul_f16 v8, 0x3aee, v8 op_sel_hi:[0,1]
	v_pk_add_f16 v12, v9, v19
	v_pk_add_f16 v9, v9, v19 neg_lo:[0,1] neg_hi:[0,1]
	v_bfi_b32 v10, 0xffff, v10, v17
	v_pk_add_f16 v73, v73, v21
	ds_store_2addr_b32 v57, v74, v13 offset1:1
	ds_store_b32 v57, v10 offset:8
	v_bfi_b32 v10, 0xffff, v14, v11
	v_pk_add_f16 v13, v6, v8 op_sel:[0,1] op_sel_hi:[1,0]
	v_pk_add_f16 v6, v6, v8 op_sel:[0,1] op_sel_hi:[1,0] neg_lo:[0,1] neg_hi:[0,1]
	v_pk_fma_f16 v7, v12, 0.5, v7 op_sel_hi:[1,0,1] neg_lo:[1,0,0] neg_hi:[1,0,0]
	v_pk_mul_f16 v8, 0x3aee, v9 op_sel_hi:[0,1]
	v_bfi_b32 v11, 0xffff, v11, v14
	v_pk_add_f16 v72, v72, v18
	ds_store_2addr_b32 v56, v73, v10 offset1:1
	ds_store_b32 v56, v11 offset:8
	v_bfi_b32 v9, 0xffff, v13, v6
	v_pk_add_f16 v10, v7, v8 op_sel:[0,1] op_sel_hi:[1,0]
	v_pk_add_f16 v7, v7, v8 op_sel:[0,1] op_sel_hi:[1,0] neg_lo:[0,1] neg_hi:[0,1]
	v_pk_add_f16 v8, v2, v4
	v_bfi_b32 v6, 0xffff, v6, v13
	v_pk_add_f16 v61, v61, v4
	v_pk_add_f16 v2, v2, v4 neg_lo:[0,1] neg_hi:[0,1]
	ds_store_2addr_b32 v54, v72, v9 offset1:1
	ds_store_b32 v54, v6 offset:8
	v_bfi_b32 v4, 0xffff, v10, v7
	v_bfi_b32 v6, 0xffff, v7, v10
	v_pk_fma_f16 v0, v8, 0.5, v0 op_sel_hi:[1,0,1] neg_lo:[1,0,0] neg_hi:[1,0,0]
	v_pk_add_f16 v7, v3, v5
	v_pk_add_f16 v3, v3, v5 neg_lo:[0,1] neg_hi:[0,1]
	v_and_b32_e32 v8, 0xff, v24
	v_pk_add_f16 v50, v50, v5
	v_pk_add_f16 v71, v71, v19
	v_pk_mul_f16 v2, 0x3aee, v2 op_sel_hi:[0,1]
	v_pk_fma_f16 v1, v7, 0.5, v1 op_sel_hi:[1,0,1] neg_lo:[1,0,0] neg_hi:[1,0,0]
	v_pk_mul_f16 v3, 0x3aee, v3 op_sel_hi:[0,1]
	v_mul_lo_u16 v5, 0xab, v8
	ds_store_2addr_b32 v55, v71, v4 offset1:1
	ds_store_b32 v55, v6 offset:8
	v_pk_add_f16 v4, v0, v2 op_sel:[0,1] op_sel_hi:[1,0]
	v_pk_add_f16 v0, v0, v2 op_sel:[0,1] op_sel_hi:[1,0] neg_lo:[0,1] neg_hi:[0,1]
	v_pk_add_f16 v2, v1, v3 op_sel:[0,1] op_sel_hi:[1,0]
	v_pk_add_f16 v1, v1, v3 op_sel:[0,1] op_sel_hi:[1,0] neg_lo:[0,1] neg_hi:[0,1]
	v_lshrrev_b16 v16, 9, v5
	v_mul_lo_u16 v3, 0xab, v86
	v_mad_i32_i24 v53, v35, 12, 0
	v_mad_i32_i24 v52, v32, 12, 0
	v_bfi_b32 v5, 0xffff, v4, v0
	v_bfi_b32 v0, 0xffff, v0, v4
	;; [unrolled: 1-line block ×3, first 2 shown]
	v_mul_lo_u16 v6, v16, 3
	v_lshrrev_b16 v11, 9, v3
	v_mul_u32_u24_e32 v3, 0xaaab, v85
	v_and_b32_e32 v84, 0xffff, v39
	v_bfi_b32 v1, 0xffff, v1, v2
	ds_store_2addr_b32 v53, v61, v5 offset1:1
	ds_store_b32 v53, v0 offset:8
	v_sub_nc_u16 v0, v24, v6
	v_mul_lo_u16 v2, v11, 3
	ds_store_2addr_b32 v52, v50, v4 offset1:1
	ds_store_b32 v52, v1 offset:8
	v_lshrrev_b32_e32 v14, 17, v3
	v_mul_u32_u24_e32 v1, 0xaaab, v84
	v_and_b32_e32 v20, 0xff, v0
	v_sub_nc_u16 v0, v28, v2
	v_and_b32_e32 v83, 0xffff, v38
	v_mul_lo_u16 v3, v14, 3
	v_lshrrev_b32_e32 v13, 17, v1
	v_and_b32_e32 v4, 0xffff, v37
	v_and_b32_e32 v19, 0xff, v0
	v_lshlrev_b32_e32 v2, 3, v20
	v_sub_nc_u16 v0, v40, v3
	v_mul_lo_u16 v1, v13, 3
	v_mul_u32_u24_e32 v3, 0xaaab, v83
	global_wb scope:SCOPE_SE
	s_wait_dscnt 0x0
	s_barrier_signal -1
	v_and_b32_e32 v18, 0xffff, v0
	v_sub_nc_u16 v0, v39, v1
	v_mul_u32_u24_e32 v1, 0xaaab, v4
	v_lshrrev_b32_e32 v15, 17, v3
	v_and_b32_e32 v4, 0xffff, v33
	v_lshlrev_b32_e32 v3, 3, v19
	v_and_b32_e32 v17, 0xffff, v0
	v_lshrrev_b32_e32 v12, 17, v1
	v_and_b32_e32 v1, 0xffff, v36
	v_mul_lo_u16 v0, v15, 3
	v_mul_u32_u24_e32 v42, 0xaaab, v4
	v_lshlrev_b32_e32 v9, 3, v18
	v_mul_lo_u16 v22, v12, 3
	v_mul_u32_u24_e32 v23, 0xaaab, v1
	v_lshlrev_b32_e32 v10, 3, v17
	s_barrier_wait -1
	global_inv scope:SCOPE_SE
	v_sub_nc_u16 v21, v38, v0
	s_clause 0x3
	global_load_b64 v[6:7], v2, s[8:9]
	global_load_b64 v[4:5], v3, s[8:9]
	;; [unrolled: 1-line block ×4, first 2 shown]
	v_lshrrev_b32_e32 v9, 17, v23
	v_sub_nc_u16 v22, v37, v22
	v_lshrrev_b32_e32 v10, 17, v42
	v_and_b32_e32 v23, 0xffff, v35
	v_and_b32_e32 v44, 0xffff, v32
	v_mul_lo_u16 v43, v9, 3
	v_and_b32_e32 v45, 0xffff, v22
	v_mul_lo_u16 v22, v10, 3
	v_and_b32_e32 v21, 0xffff, v21
	v_mul_u32_u24_e32 v23, 0xaaab, v23
	v_sub_nc_u16 v43, v36, v43
	v_mul_u32_u24_e32 v44, 0xaaab, v44
	v_sub_nc_u16 v22, v33, v22
	v_lshlrev_b32_e32 v42, 3, v21
	v_lshlrev_b32_e32 v50, 3, v45
	v_lshrrev_b32_e32 v23, 17, v23
	v_and_b32_e32 v47, 0xffff, v43
	v_and_b32_e32 v46, 0xffff, v22
	v_lshrrev_b32_e32 v22, 17, v44
	s_clause 0x1
	global_load_b64 v[48:49], v42, s[8:9]
	global_load_b64 v[72:73], v50, s[8:9]
	v_mul_lo_u16 v42, v23, 3
	v_lshlrev_b32_e32 v43, 3, v47
	v_mul_lo_u16 v50, v22, 3
	v_lshlrev_b32_e32 v44, 3, v46
	s_clause 0x1
	global_load_b64 v[74:75], v43, s[8:9]
	global_load_b64 v[76:77], v44, s[8:9]
	v_sub_nc_u16 v42, v35, v42
	v_sub_nc_u16 v43, v32, v50
	v_lshlrev_b32_e32 v71, 3, v33
	v_lshl_add_u32 v61, v28, 2, 0
	v_lshlrev_b32_e32 v20, 2, v20
	v_and_b32_e32 v44, 0xffff, v42
	v_and_b32_e32 v43, 0xffff, v43
	;; [unrolled: 1-line block ×3, first 2 shown]
	v_lshlrev_b32_e32 v19, 2, v19
	v_mul_u32_u24_e32 v14, 36, v14
	v_lshlrev_b32_e32 v42, 3, v44
	v_lshlrev_b32_e32 v50, 3, v43
	s_clause 0x1
	global_load_b64 v[78:79], v42, s[8:9]
	global_load_b64 v[87:88], v50, s[8:9]
	ds_load_2addr_b32 v[80:81], v70 offset0:112 offset1:220
	ds_load_2addr_b32 v[89:90], v69 offset0:56 offset1:164
	;; [unrolled: 1-line block ×10, first 2 shown]
	v_sub_nc_u32_e32 v50, v55, v71
	v_mul_u32_u24_e32 v11, 36, v11
	v_mul_u32_u24_e32 v13, 36, v13
	v_lshlrev_b32_e32 v17, 2, v17
	v_mul_u32_u24_e32 v12, 36, v12
	v_mul_u32_u24_e32 v9, 36, v9
	v_add3_u32 v11, 0, v11, v19
	v_lshlrev_b32_e32 v47, 2, v47
	v_cmp_gt_u32_e64 s0, 0x5a, v24
	s_mov_b32 s1, exec_lo
	s_wait_dscnt 0x9
	v_lshrrev_b32_e32 v42, 16, v80
	s_wait_dscnt 0x8
	v_lshrrev_b32_e32 v107, 16, v89
	v_lshrrev_b32_e32 v82, 16, v90
	;; [unrolled: 1-line block ×3, first 2 shown]
	s_wait_dscnt 0x6
	v_lshrrev_b32_e32 v110, 16, v93
	v_lshrrev_b32_e32 v109, 16, v91
	;; [unrolled: 1-line block ×4, first 2 shown]
	s_wait_dscnt 0x5
	v_lshrrev_b32_e32 v113, 16, v95
	s_wait_dscnt 0x4
	v_lshrrev_b32_e32 v114, 16, v97
	v_lshrrev_b32_e32 v115, 16, v96
	v_lshrrev_b32_e32 v116, 16, v98
	s_wait_dscnt 0x3
	v_lshrrev_b32_e32 v117, 16, v99
	s_wait_dscnt 0x2
	v_lshrrev_b32_e32 v118, 16, v101
	v_lshrrev_b32_e32 v119, 16, v100
	v_lshrrev_b32_e32 v120, 16, v102
	;; [unrolled: 6-line block ×3, first 2 shown]
	v_add3_u32 v9, 0, v9, v47
	s_wait_loadcnt 0x9
	v_lshrrev_b32_e32 v125, 16, v6
	v_lshrrev_b32_e32 v126, 16, v7
	s_wait_loadcnt 0x8
	v_lshrrev_b32_e32 v127, 16, v4
	v_lshrrev_b32_e32 v128, 16, v5
	s_wait_loadcnt 0x7
	v_lshrrev_b32_e32 v130, 16, v3
	v_mul_f16_e64 v131, v125, v89
	v_mul_f16_e64 v133, v80, v126
	v_mul_f16_e32 v125, v125, v107
	v_mul_f16_e32 v126, v42, v126
	v_lshrrev_b32_e32 v129, 16, v2
	v_fmac_f16_e64 v131, v6, v107
	v_fmac_f16_e64 v133, v42, v7
	v_mul_f16_e32 v42, v82, v127
	v_fma_f16 v6, v6, v89, -v125
	v_mul_f16_e32 v89, v90, v127
	v_mul_f16_e64 v127, v81, v128
	s_wait_loadcnt 0x6
	v_lshrrev_b32_e32 v132, 16, v0
	v_mul_f16_e64 v125, v108, v128
	v_lshrrev_b32_e32 v107, 16, v1
	v_fma_f16 v7, v80, v7, -v126
	v_fmac_f16_e32 v127, v108, v5
	v_mul_f16_e64 v108, v93, v130
	v_mul_f16_e64 v130, v110, v130
	s_wait_loadcnt 0x5
	v_lshrrev_b32_e32 v80, 16, v48
	v_fma_f16 v90, v90, v4, -v42
	v_lshrrev_b32_e32 v42, 16, v49
	v_fma_f16 v125, v81, v5, -v125
	v_mul_f16_e64 v5, v91, v129
	v_mul_f16_e64 v129, v109, v129
	v_fmac_f16_e32 v108, v110, v3
	v_mul_f16_e64 v110, v111, v132
	v_fma_f16 v3, v93, v3, -v130
	v_mul_f16_e64 v93, v92, v132
	s_wait_loadcnt 0x4
	v_lshrrev_b32_e32 v126, 16, v72
	v_lshrrev_b32_e32 v81, 16, v73
	s_wait_loadcnt 0x3
	v_lshrrev_b32_e32 v128, 16, v74
	v_fmac_f16_e32 v89, v82, v4
	v_lshrrev_b32_e32 v4, 16, v75
	s_wait_loadcnt 0x2
	v_lshrrev_b32_e32 v82, 16, v76
	v_fmac_f16_e32 v5, v109, v2
	v_lshrrev_b32_e32 v109, 16, v77
	v_fma_f16 v2, v91, v2, -v129
	v_mul_f16_e64 v129, v112, v107
	v_fma_f16 v92, v92, v0, -v110
	v_mul_f16_e32 v107, v94, v107
	v_mul_f16_e64 v132, v95, v80
	v_fmac_f16_e32 v93, v111, v0
	s_wait_loadcnt 0x1
	v_lshrrev_b32_e32 v91, 16, v78
	v_lshrrev_b32_e32 v110, 16, v79
	v_mul_f16_e32 v111, v97, v42
	v_mul_f16_e32 v0, v113, v80
	;; [unrolled: 1-line block ×3, first 2 shown]
	v_fma_f16 v94, v94, v1, -v129
	v_fmac_f16_e32 v107, v112, v1
	v_mul_f16_e32 v1, v115, v126
	v_mul_f16_e32 v112, v96, v126
	;; [unrolled: 1-line block ×4, first 2 shown]
	v_mul_f16_e64 v134, v99, v128
	v_fmac_f16_e64 v132, v113, v48
	v_mul_f16_e32 v113, v101, v4
	v_mul_f16_e64 v81, v117, v128
	v_mul_f16_e32 v4, v118, v4
	v_fmac_f16_e32 v111, v114, v49
	v_mul_f16_e32 v114, v119, v82
	v_mul_f16_e64 v128, v100, v82
	v_fma_f16 v48, v95, v48, -v0
	v_fma_f16 v49, v97, v49, -v42
	v_mul_f16_e32 v0, v120, v109
	v_mul_f16_e32 v42, v121, v91
	;; [unrolled: 1-line block ×6, first 2 shown]
	v_fma_f16 v4, v101, v75, -v4
	v_fma_f16 v101, v102, v77, -v0
	;; [unrolled: 1-line block ×4, first 2 shown]
	ds_load_b32 v105, v51
	s_wait_loadcnt 0x0
	v_lshrrev_b32_e32 v129, 16, v88
	v_lshrrev_b32_e32 v130, 16, v87
	v_fma_f16 v1, v96, v72, -v1
	v_fmac_f16_e32 v112, v115, v72
	v_lshlrev_b32_e32 v72, 3, v40
	v_fma_f16 v98, v98, v73, -v80
	v_mul_f16_e64 v80, v124, v129
	v_fmac_f16_e32 v126, v116, v73
	v_lshlrev_b32_e32 v73, 3, v39
	v_fmac_f16_e64 v134, v117, v74
	v_fma_f16 v99, v99, v74, -v81
	v_lshlrev_b32_e32 v74, 3, v38
	v_mul_f16_e64 v95, v123, v130
	v_mul_f16_e64 v96, v104, v130
	v_fmac_f16_e32 v113, v118, v75
	v_lshlrev_b32_e32 v75, 3, v37
	v_fma_f16 v100, v100, v76, -v114
	v_fmac_f16_e64 v128, v119, v76
	v_lshlrev_b32_e32 v76, 3, v36
	v_sub_nc_u32_e32 v81, v59, v72
	v_mul_f16_e64 v110, v106, v129
	v_fma_f16 v106, v106, v88, -v80
	v_sub_nc_u32_e32 v80, v58, v73
	v_fmac_f16_e32 v91, v122, v79
	v_sub_nc_u32_e32 v79, v57, v74
	v_fmac_f16_e32 v97, v120, v77
	v_fma_f16 v104, v104, v87, -v95
	v_sub_nc_u32_e32 v82, v56, v75
	s_wait_dscnt 0x0
	v_lshrrev_b32_e32 v120, 16, v105
	v_fmac_f16_e32 v96, v123, v87
	v_add_f16_e32 v0, v6, v7
	v_add_f16_e64 v87, v131, v133
	v_sub_nc_u32_e32 v42, v54, v76
	ds_load_b32 v114, v61
	ds_load_b32 v115, v81
	;; [unrolled: 1-line block ×7, first 2 shown]
	v_fmac_f16_e32 v109, v121, v78
	v_fmac_f16_e32 v110, v124, v88
	v_add_f16_e32 v77, v105, v6
	v_add_f16_e64 v78, v120, v131
	v_fmac_f16_e32 v105, -0.5, v0
	v_sub_f16_e64 v88, v131, v133
	v_fmac_f16_e32 v120, -0.5, v87
	v_sub_f16_e32 v6, v6, v7
	v_and_b32_e32 v0, 0xffff, v16
	v_add_f16_e64 v16, v78, v133
	v_add_f16_e32 v7, v77, v7
	v_lshlrev_b32_e32 v77, 3, v35
	v_fmamk_f16 v87, v88, 0x3aee, v105
	v_fmamk_f16 v121, v6, 0xbaee, v120
	v_lshlrev_b32_e32 v78, 3, v32
	v_mul_u32_u24_e32 v0, 36, v0
	v_sub_nc_u32_e32 v122, v53, v77
	v_pack_b32_f16 v7, v7, v16
	v_pack_b32_f16 v16, v87, v121
	s_wait_dscnt 0x6
	v_lshrrev_b32_e32 v121, 16, v114
	v_fmac_f16_e32 v105, 0xbaee, v88
	v_add_f16_e32 v88, v90, v125
	v_add_f16_e32 v123, v89, v127
	v_sub_nc_u32_e32 v95, v52, v78
	v_add3_u32 v20, 0, v0, v20
	ds_load_b32 v87, v122
	ds_load_b32 v0, v95
	v_fmac_f16_e32 v120, 0x3aee, v6
	v_add_f16_e32 v6, v114, v90
	v_add_f16_e32 v122, v121, v89
	v_fmac_f16_e32 v114, -0.5, v88
	v_sub_f16_e32 v88, v89, v127
	v_fmac_f16_e32 v121, -0.5, v123
	v_sub_f16_e32 v90, v90, v125
	v_add_f16_e32 v89, v122, v127
	v_add_f16_e32 v6, v6, v125
	v_fmamk_f16 v122, v88, 0x3aee, v114
	global_wb scope:SCOPE_SE
	s_wait_dscnt 0x0
	v_fmamk_f16 v123, v90, 0xbaee, v121
	s_barrier_signal -1
	s_barrier_wait -1
	global_inv scope:SCOPE_SE
	ds_store_2addr_b32 v20, v7, v16 offset1:3
	v_pack_b32_f16 v7, v105, v120
	v_lshrrev_b32_e32 v19, 16, v115
	v_pack_b32_f16 v6, v6, v89
	v_pack_b32_f16 v16, v122, v123
	v_fmac_f16_e32 v114, 0xbaee, v88
	v_fmac_f16_e32 v121, 0x3aee, v90
	ds_store_b32 v20, v7 offset:24
	ds_store_2addr_b32 v11, v6, v16 offset1:3
	v_add_f16_e32 v6, v2, v3
	v_add_f16_e32 v16, v19, v5
	;; [unrolled: 1-line block ×4, first 2 shown]
	v_pack_b32_f16 v7, v114, v121
	v_fmac_f16_e32 v115, -0.5, v6
	v_sub_f16_e32 v5, v5, v108
	v_add_f16_e32 v6, v16, v108
	v_fmac_f16_e32 v19, -0.5, v20
	v_sub_f16_e32 v2, v2, v3
	v_lshlrev_b32_e32 v16, 2, v18
	v_add_f16_e32 v3, v88, v3
	v_fmamk_f16 v18, v5, 0x3aee, v115
	ds_store_b32 v11, v7 offset:24
	v_fmamk_f16 v20, v2, 0xbaee, v19
	v_add3_u32 v7, 0, v14, v16
	v_pack_b32_f16 v3, v3, v6
	v_lshrrev_b32_e32 v6, 16, v116
	v_fmac_f16_e32 v115, 0xbaee, v5
	v_add_f16_e32 v5, v92, v94
	v_add_f16_e32 v14, v93, v107
	v_pack_b32_f16 v11, v18, v20
	v_fmac_f16_e32 v19, 0x3aee, v2
	v_add_f16_e32 v2, v6, v93
	v_add_f16_e32 v16, v116, v92
	v_fmac_f16_e32 v116, -0.5, v5
	v_sub_f16_e32 v5, v93, v107
	v_fmac_f16_e32 v6, -0.5, v14
	v_sub_f16_e32 v14, v92, v94
	v_add_f16_e32 v2, v2, v107
	v_add_f16_e32 v16, v16, v94
	v_fmamk_f16 v18, v5, 0x3aee, v116
	ds_store_2addr_b32 v7, v3, v11 offset1:3
	v_fmamk_f16 v20, v14, 0xbaee, v6
	v_pack_b32_f16 v3, v115, v19
	v_add3_u32 v11, 0, v13, v17
	v_pack_b32_f16 v2, v16, v2
	v_fmac_f16_e32 v116, 0xbaee, v5
	v_pack_b32_f16 v13, v18, v20
	v_fmac_f16_e32 v6, 0x3aee, v14
	ds_store_b32 v7, v3 offset:24
	v_add_f16_e32 v3, v48, v49
	v_mul_u32_u24_e32 v14, 36, v15
	ds_store_2addr_b32 v11, v2, v13 offset1:3
	v_lshrrev_b32_e32 v2, 16, v117
	v_pack_b32_f16 v5, v116, v6
	v_add_f16_e32 v6, v117, v48
	v_fmac_f16_e32 v117, -0.5, v3
	v_add_f16_e64 v3, v132, v111
	v_add_f16_e64 v7, v2, v132
	v_sub_f16_e64 v13, v132, v111
	v_lshlrev_b32_e32 v15, 2, v21
	v_add_f16_e32 v6, v6, v49
	v_fmac_f16_e32 v2, -0.5, v3
	v_sub_f16_e32 v3, v48, v49
	v_add_f16_e32 v7, v7, v111
	v_add3_u32 v14, 0, v14, v15
	v_fmamk_f16 v15, v13, 0x3aee, v117
	v_fmac_f16_e32 v117, 0xbaee, v13
	v_fmamk_f16 v16, v3, 0xbaee, v2
	v_fmac_f16_e32 v2, 0x3aee, v3
	v_lshrrev_b32_e32 v3, 16, v118
	v_pack_b32_f16 v6, v6, v7
	v_add_f16_e32 v13, v1, v98
	v_pack_b32_f16 v7, v15, v16
	v_add_f16_e32 v16, v112, v126
	v_add_f16_e32 v15, v3, v112
	;; [unrolled: 1-line block ×3, first 2 shown]
	v_fmac_f16_e32 v118, -0.5, v13
	v_sub_f16_e32 v13, v112, v126
	v_fmac_f16_e32 v3, -0.5, v16
	v_sub_f16_e32 v1, v1, v98
	v_add_f16_e32 v16, v17, v98
	v_lshlrev_b32_e32 v17, 2, v45
	v_fmamk_f16 v18, v13, 0x3aee, v118
	v_fmac_f16_e32 v118, 0xbaee, v13
	v_fmamk_f16 v19, v1, 0xbaee, v3
	v_fmac_f16_e32 v3, 0x3aee, v1
	v_add_f16_e32 v15, v15, v126
	v_add3_u32 v1, 0, v12, v17
	v_pack_b32_f16 v2, v117, v2
	v_pack_b32_f16 v13, v18, v19
	;; [unrolled: 1-line block ×4, first 2 shown]
	ds_store_b32 v11, v5 offset:24
	ds_store_2addr_b32 v14, v6, v7 offset1:3
	ds_store_b32 v14, v2 offset:24
	ds_store_2addr_b32 v1, v12, v13 offset1:3
	v_add_f16_e32 v2, v99, v4
	ds_store_b32 v1, v3 offset:24
	v_lshrrev_b32_e32 v1, 16, v119
	v_add_f16_e64 v3, v134, v113
	v_add_f16_e32 v5, v119, v99
	v_fmac_f16_e32 v119, -0.5, v2
	v_sub_f16_e64 v2, v134, v113
	v_add_f16_e64 v6, v1, v134
	v_fmac_f16_e32 v1, -0.5, v3
	v_sub_f16_e32 v3, v99, v4
	v_add_f16_e32 v4, v5, v4
	v_fmamk_f16 v5, v2, 0x3aee, v119
	v_fmac_f16_e32 v119, 0xbaee, v2
	v_add_f16_e32 v2, v6, v113
	v_fmamk_f16 v6, v3, 0xbaee, v1
	v_add_f16_e32 v7, v100, v101
	v_fmac_f16_e32 v1, 0x3aee, v3
	v_lshrrev_b32_e32 v3, 16, v50
	v_add_f16_e64 v11, v128, v97
	v_add_f16_e32 v12, v50, v100
	v_fmac_f16_e32 v50, -0.5, v7
	v_sub_f16_e64 v7, v128, v97
	v_add_f16_e64 v13, v3, v128
	v_fmac_f16_e32 v3, -0.5, v11
	v_sub_f16_e32 v11, v100, v101
	v_add_f16_e32 v15, v102, v103
	v_fmamk_f16 v14, v7, 0x3aee, v50
	v_fmac_f16_e32 v50, 0xbaee, v7
	v_add_f16_e32 v7, v13, v97
	v_fmamk_f16 v13, v11, 0xbaee, v3
	v_fmac_f16_e32 v3, 0x3aee, v11
	v_lshrrev_b32_e32 v11, 16, v87
	v_pack_b32_f16 v2, v4, v2
	v_pack_b32_f16 v4, v5, v6
	v_add_f16_e32 v17, v87, v102
	v_fmac_f16_e32 v87, -0.5, v15
	v_sub_f16_e32 v15, v109, v91
	v_add_f16_e32 v18, v11, v109
	ds_store_2addr_b32 v9, v2, v4 offset1:3
	v_mul_lo_u16 v4, v8, 57
	v_add_f16_e32 v12, v12, v101
	v_add_f16_e32 v16, v109, v91
	v_mul_u32_u24_e32 v5, 36, v10
	v_lshlrev_b32_e32 v6, 2, v46
	v_fmamk_f16 v19, v15, 0x3aee, v87
	v_fmac_f16_e32 v87, 0xbaee, v15
	v_add_f16_e32 v15, v18, v91
	v_pack_b32_f16 v1, v119, v1
	v_lshrrev_b16 v91, 9, v4
	v_fmac_f16_e32 v11, -0.5, v16
	v_sub_f16_e32 v16, v102, v103
	v_add_f16_e32 v20, v104, v106
	v_lshrrev_b32_e32 v21, 16, v0
	v_add_f16_e32 v45, v96, v110
	v_add3_u32 v2, 0, v5, v6
	v_pack_b32_f16 v5, v12, v7
	v_pack_b32_f16 v6, v14, v13
	;; [unrolled: 1-line block ×3, first 2 shown]
	ds_store_b32 v9, v1 offset:24
	ds_store_2addr_b32 v2, v5, v6 offset1:3
	ds_store_b32 v2, v3 offset:24
	v_mul_lo_u16 v1, v91, 9
	v_mul_lo_u16 v6, v86, 57
	v_add_f16_e32 v17, v17, v103
	v_fmamk_f16 v18, v16, 0xbaee, v11
	v_fmac_f16_e32 v11, 0x3aee, v16
	v_add_f16_e32 v16, v0, v104
	v_fmac_f16_e32 v0, -0.5, v20
	v_add_f16_e32 v20, v21, v96
	v_fmac_f16_e32 v21, -0.5, v45
	v_sub_f16_e32 v45, v96, v110
	v_sub_f16_e32 v48, v104, v106
	v_mul_u32_u24_e32 v7, 36, v23
	v_lshlrev_b32_e32 v4, 2, v44
	v_mul_u32_u24_e32 v9, 0xe38f, v85
	v_sub_nc_u16 v1, v24, v1
	v_lshrrev_b16 v90, 9, v6
	v_add_f16_e32 v16, v16, v106
	v_fmamk_f16 v49, v45, 0x3aee, v0
	v_add_f16_e32 v20, v20, v110
	v_fmamk_f16 v10, v48, 0xbaee, v21
	v_add3_u32 v2, 0, v7, v4
	v_mul_u32_u24_e32 v3, 36, v22
	v_lshlrev_b32_e32 v4, 2, v43
	v_pack_b32_f16 v5, v17, v15
	v_pack_b32_f16 v7, v19, v18
	;; [unrolled: 1-line block ×3, first 2 shown]
	v_lshrrev_b32_e32 v87, 19, v9
	v_and_b32_e32 v93, 0xff, v1
	v_mul_lo_u16 v1, v90, 9
	v_add3_u32 v3, 0, v3, v4
	v_pack_b32_f16 v4, v16, v20
	v_pack_b32_f16 v6, v49, v10
	ds_store_2addr_b32 v2, v5, v7 offset1:3
	v_mul_lo_u16 v5, v87, 9
	v_fmac_f16_e32 v0, 0xbaee, v45
	v_fmac_f16_e32 v21, 0x3aee, v48
	v_sub_nc_u16 v1, v28, v1
	ds_store_b32 v2, v8 offset:24
	ds_store_2addr_b32 v3, v4, v6 offset1:3
	v_sub_nc_u16 v4, v40, v5
	v_pack_b32_f16 v0, v0, v21
	v_mul_u32_u24_e32 v2, 9, v93
	v_and_b32_e32 v89, 0xff, v1
	v_and_b32_e32 v91, 0xffff, v91
	;; [unrolled: 1-line block ×3, first 2 shown]
	ds_store_b32 v3, v0 offset:24
	v_lshlrev_b32_e32 v43, 2, v2
	v_mul_u32_u24_e32 v0, 9, v89
	global_wb scope:SCOPE_SE
	s_wait_dscnt 0x0
	v_mul_u32_u24_e32 v1, 9, v88
	s_barrier_signal -1
	s_barrier_wait -1
	global_inv scope:SCOPE_SE
	v_lshlrev_b32_e32 v94, 2, v0
	global_load_b128 v[12:15], v43, s[8:9] offset:24
	v_lshlrev_b32_e32 v92, 2, v1
	s_clause 0x5
	global_load_b128 v[8:11], v94, s[8:9] offset:24
	global_load_b128 v[4:7], v92, s[8:9] offset:24
	;; [unrolled: 1-line block ×5, first 2 shown]
	global_load_b32 v96, v43, s[8:9] offset:56
	v_add_nc_u32_e32 v43, 0xa00, v51
	ds_load_b32 v98, v80
	ds_load_b32 v97, v42
	ds_load_2addr_b32 v[49:50], v64 offset0:16 offset1:124
	ds_load_2addr_b32 v[47:48], v41 offset0:48 offset1:156
	;; [unrolled: 1-line block ×4, first 2 shown]
	ds_load_u16 v99, v95 offset:2
	ds_load_b32 v100, v95
	ds_load_2addr_b32 v[41:42], v68 offset0:104 offset1:212
	ds_load_b32 v95, v81
	s_clause 0x1
	global_load_b32 v94, v94, s[8:9] offset:56
	global_load_b32 v92, v92, s[8:9] offset:56
	v_and_b32_e32 v90, 0xffff, v90
	v_lshlrev_b32_e32 v89, 2, v89
	s_delay_alu instid0(VALU_DEP_2)
	v_mul_u32_u24_e32 v90, 0x168, v90
	s_wait_dscnt 0x9
	v_lshrrev_b32_e32 v105, 16, v98
	s_wait_dscnt 0x8
	v_lshrrev_b32_e32 v106, 16, v97
	;; [unrolled: 2-line block ×3, first 2 shown]
	v_lshrrev_b32_e32 v108, 16, v50
	s_wait_dscnt 0x6
	v_lshrrev_b32_e32 v109, 16, v47
	s_wait_dscnt 0x5
	v_lshrrev_b32_e32 v110, 16, v45
	v_lshrrev_b32_e32 v112, 16, v48
	s_wait_dscnt 0x4
	v_lshrrev_b32_e32 v111, 16, v43
	v_lshrrev_b32_e32 v114, 16, v44
	;; [unrolled: 1-line block ×3, first 2 shown]
	s_wait_loadcnt 0x8
	v_lshrrev_b32_e32 v101, 16, v12
	v_lshrrev_b32_e32 v102, 16, v13
	v_lshrrev_b32_e32 v103, 16, v14
	v_lshrrev_b32_e32 v104, 16, v15
	s_wait_loadcnt 0x7
	v_lshrrev_b32_e32 v115, 16, v11
	v_lshrrev_b32_e32 v116, 16, v8
	;; [unrolled: 1-line block ×3, first 2 shown]
	s_wait_loadcnt 0x6
	v_lshrrev_b32_e32 v119, 16, v4
	v_mul_f16_e32 v121, v101, v105
	v_mul_f16_e32 v122, v101, v98
	;; [unrolled: 1-line block ×3, first 2 shown]
	s_wait_dscnt 0x3
	v_mul_f16_e32 v125, v99, v103
	s_wait_dscnt 0x2
	v_mul_f16_e32 v126, v103, v100
	v_mul_f16_e32 v127, v49, v104
	v_mul_f16_e64 v128, v107, v104
	v_mul_f16_e64 v129, v108, v115
	v_mul_f16_e32 v103, v50, v115
	v_mul_f16_e32 v101, v47, v116
	v_mul_f16_e32 v104, v45, v117
	v_mul_f16_e32 v115, v109, v116
	v_mul_f16_e32 v116, v110, v117
	v_lshrrev_b32_e32 v118, 16, v10
	v_mul_f16_e32 v123, v102, v106
	v_fmac_f16_e32 v122, v12, v105
	v_fmac_f16_e32 v124, v13, v106
	v_fma_f16 v105, v50, v11, -v129
	v_fmac_f16_e32 v104, v110, v9
	v_fmac_f16_e32 v103, v108, v11
	v_fma_f16 v106, v45, v9, -v116
	v_lshrrev_b32_e32 v11, 16, v6
	v_mul_f16_e32 v9, v112, v119
	v_lshrrev_b32_e32 v120, 16, v5
	v_mul_f16_e32 v102, v43, v118
	v_mul_f16_e32 v117, v111, v118
	v_fma_f16 v100, v14, v100, -v125
	v_fmac_f16_e32 v126, v99, v14
	v_fmac_f16_e32 v127, v107, v15
	v_fma_f16 v99, v49, v15, -v128
	v_fmac_f16_e32 v101, v109, v8
	v_fma_f16 v15, v47, v8, -v115
	v_mul_f16_e32 v8, v48, v119
	v_mul_f16_e32 v14, v114, v11
	v_fma_f16 v9, v48, v4, -v9
	ds_load_2addr_b32 v[47:48], v62 offset0:24 offset1:132
	v_fma_f16 v98, v12, v98, -v121
	v_fmac_f16_e32 v102, v111, v10
	v_mul_f16_e32 v12, v113, v120
	v_fma_f16 v43, v43, v10, -v117
	v_mul_f16_e32 v10, v44, v11
	v_fma_f16 v11, v44, v6, -v14
	ds_load_2addr_b32 v[44:45], v70 offset0:112 offset1:220
	ds_load_2addr_b32 v[49:50], v60 offset0:32 offset1:140
	v_fma_f16 v97, v13, v97, -v123
	v_fma_f16 v13, v46, v5, -v12
	v_mul_f16_e32 v12, v46, v120
	v_lshrrev_b32_e32 v46, 16, v7
	s_wait_dscnt 0x4
	v_lshrrev_b32_e32 v14, 16, v41
	v_lshrrev_b32_e32 v107, 16, v42
	s_wait_loadcnt 0x5
	v_lshrrev_b32_e32 v108, 16, v0
	v_fmac_f16_e32 v8, v112, v4
	v_mul_f16_e32 v4, v41, v46
	v_fmac_f16_e32 v12, v113, v5
	v_mul_f16_e32 v5, v14, v46
	;; [unrolled: 2-line block ×3, first 2 shown]
	v_fmac_f16_e32 v4, v14, v7
	v_lshrrev_b32_e32 v14, 16, v1
	v_fma_f16 v5, v41, v7, -v5
	v_mul_f16_e32 v108, v42, v108
	s_wait_dscnt 0x2
	v_lshrrev_b32_e32 v7, 16, v47
	v_fma_f16 v109, v42, v0, -v6
	v_lshrrev_b32_e32 v6, 16, v2
	v_mul_f16_e32 v110, v47, v14
	v_fmac_f16_e32 v108, v107, v0
	v_mul_f16_e32 v0, v7, v14
	s_wait_dscnt 0x1
	v_lshrrev_b32_e32 v14, 16, v45
	v_mul_f16_e32 v107, v45, v6
	v_lshrrev_b32_e32 v41, 16, v3
	s_wait_dscnt 0x0
	v_lshrrev_b32_e32 v46, 16, v49
	v_fmac_f16_e32 v110, v7, v1
	v_mul_f16_e32 v111, v14, v6
	ds_load_2addr_b32 v[6:7], v66 offset0:64 offset1:172
	v_fmac_f16_e32 v107, v14, v2
	v_mul_f16_e32 v112, v49, v41
	v_mul_f16_e32 v14, v46, v41
	ds_load_2addr_b32 v[41:42], v65 offset0:72 offset1:180
	v_lshrrev_b32_e32 v113, 16, v48
	s_wait_loadcnt 0x4
	v_lshrrev_b32_e32 v114, 16, v17
	v_lshrrev_b32_e32 v115, 16, v50
	;; [unrolled: 1-line block ×3, first 2 shown]
	v_fma_f16 v47, v47, v1, -v0
	v_fmac_f16_e32 v112, v46, v3
	v_mul_f16_e32 v0, v113, v114
	v_fma_f16 v111, v45, v2, -v111
	v_mul_f16_e32 v1, v115, v116
	v_lshrrev_b32_e32 v2, 16, v16
	ds_load_2addr_b32 v[45:46], v34 offset0:120 offset1:228
	v_fma_f16 v117, v48, v17, -v0
	v_mul_f16_e32 v48, v48, v114
	v_fma_f16 v114, v50, v19, -v1
	v_lshrrev_b32_e32 v1, 16, v18
	v_fma_f16 v49, v49, v3, -v14
	s_wait_dscnt 0x2
	v_lshrrev_b32_e32 v0, 16, v6
	v_mul_f16_e32 v118, v6, v2
	v_mul_f16_e32 v50, v50, v116
	s_wait_dscnt 0x1
	v_lshrrev_b32_e32 v3, 16, v41
	v_fmac_f16_e32 v48, v113, v17
	v_mul_f16_e32 v113, v41, v1
	v_mul_f16_e32 v2, v0, v2
	v_fmac_f16_e32 v118, v0, v16
	v_mul_f16_e32 v0, v3, v1
	v_lshrrev_b32_e32 v17, 16, v7
	s_wait_loadcnt 0x3
	v_lshrrev_b32_e32 v1, 16, v20
	v_fmac_f16_e32 v113, v3, v18
	v_fmac_f16_e32 v50, v115, v19
	v_lshrrev_b32_e32 v19, 16, v44
	v_lshrrev_b32_e32 v3, 16, v21
	;; [unrolled: 1-line block ×4, first 2 shown]
	v_mul_f16_e32 v14, v17, v1
	v_fma_f16 v119, v6, v16, -v2
	v_mul_f16_e32 v6, v19, v3
	v_mul_f16_e32 v1, v7, v1
	;; [unrolled: 1-line block ×3, first 2 shown]
	v_fma_f16 v41, v41, v18, -v0
	v_fma_f16 v2, v7, v20, -v14
	;; [unrolled: 1-line block ×3, first 2 shown]
	v_mul_f16_e32 v6, v44, v3
	v_mul_f16_e32 v0, v42, v116
	v_fma_f16 v3, v42, v22, -v16
	v_fmac_f16_e32 v1, v17, v20
	v_lshrrev_b32_e32 v16, 16, v23
	s_wait_dscnt 0x0
	v_lshrrev_b32_e32 v18, 16, v46
	s_wait_loadcnt 0x2
	v_lshrrev_b32_e32 v20, 16, v96
	v_lshrrev_b32_e32 v17, 16, v45
	v_fmac_f16_e32 v6, v19, v21
	v_fmac_f16_e32 v0, v115, v22
	v_mul_f16_e32 v7, v45, v16
	v_mul_f16_e32 v19, v18, v20
	v_sub_f16_e32 v21, v97, v99
	v_sub_f16_e32 v22, v49, v47
	v_mul_f16_e32 v16, v17, v16
	v_fmac_f16_e32 v7, v17, v23
	v_fma_f16 v17, v46, v96, -v19
	v_mul_f16_e32 v20, v46, v20
	v_add_f16_e32 v19, v21, v22
	ds_load_b32 v22, v51
	v_add_f16_e32 v21, v108, v107
	v_sub_f16_e32 v42, v100, v109
	v_fmac_f16_e32 v20, v18, v96
	v_sub_f16_e32 v44, v17, v111
	v_sub_f16_e32 v96, v126, v108
	v_fma_f16 v16, v45, v23, -v16
	v_sub_f16_e32 v18, v124, v127
	v_sub_f16_e32 v115, v20, v107
	v_add_f16_e32 v23, v109, v111
	v_fma_f16 v21, -0.5, v21, v122
	v_sub_f16_e32 v45, v100, v17
	v_sub_f16_e32 v125, v112, v110
	v_add_f16_e32 v42, v42, v44
	v_add_f16_e32 v44, v96, v115
	ds_load_b32 v96, v61
	v_fma_f16 v23, -0.5, v23, v98
	v_sub_f16_e32 v46, v126, v20
	v_fmamk_f16 v116, v45, 0xbb9c, v21
	v_sub_f16_e32 v120, v109, v111
	s_wait_dscnt 0x1
	v_lshrrev_b32_e32 v115, 16, v22
	v_add_f16_e32 v125, v18, v125
	v_add_f16_e32 v18, v22, v97
	v_add_f16_e64 v129, v98, v100
	v_add_f16_e64 v130, v122, v126
	;; [unrolled: 1-line block ×3, first 2 shown]
	v_fmamk_f16 v121, v46, 0x3b9c, v23
	v_sub_f16_e32 v123, v108, v107
	v_fmac_f16_e32 v116, 0xb8b4, v120
	v_add_f16_e32 v18, v18, v99
	v_add_f16_e64 v128, v128, v127
	v_add_f16_e64 v129, v129, v109
	;; [unrolled: 1-line block ×3, first 2 shown]
	v_fmac_f16_e32 v121, 0x38b4, v123
	v_fmac_f16_e32 v116, 0x34f2, v44
	v_add_f16_e32 v18, v18, v47
	v_add_f16_e64 v128, v128, v110
	v_add_f16_e64 v129, v129, v111
	;; [unrolled: 1-line block ×3, first 2 shown]
	v_fmac_f16_e32 v121, 0x34f2, v42
	v_mul_f16_e64 v131, 0x38b4, v116
	v_add_f16_e64 v132, v18, v49
	v_add_f16_e64 v128, v128, v112
	;; [unrolled: 1-line block ×4, first 2 shown]
	v_fmac_f16_e64 v131, 0x3a79, v121
	v_mul_f16_e32 v121, 0xb8b4, v121
	v_mul_u32_u24_e32 v18, 0x168, v91
	v_lshlrev_b32_e32 v91, 2, v93
	v_add_f16_e64 v93, v132, v129
	v_add_f16_e64 v133, v128, v130
	v_fmac_f16_e32 v121, 0x3a79, v116
	v_sub_f16_e32 v116, v97, v49
	v_add3_u32 v91, 0, v18, v91
	v_add_f16_e32 v18, v99, v47
	v_pack_b32_f16 v93, v93, v133
	v_sub_f16_e64 v133, v99, v47
	v_sub_f16_e32 v99, v99, v97
	v_add_f16_e32 v97, v97, v49
	v_sub_f16_e32 v47, v47, v49
	v_add_f16_e32 v49, v127, v110
	v_fma_f16 v134, -0.5, v18, v22
	v_sub_f16_e64 v135, v124, v112
	v_sub_f16_e64 v137, v127, v110
	v_fmac_f16_e32 v22, -0.5, v97
	v_fma_f16 v49, -0.5, v49, v115
	v_add_f16_e32 v97, v124, v112
	v_fma_f16 v136, 0x3b9c, v135, v134
	v_sub_f16_e32 v108, v108, v126
	v_fmac_f16_e32 v23, 0xbb9c, v46
	v_fma_f16 v138, 0xbb9c, v116, v49
	v_fmac_f16_e32 v115, -0.5, v97
	v_fmac_f16_e64 v136, 0x38b4, v137
	v_sub_f16_e32 v97, v109, v100
	v_fmac_f16_e32 v21, 0x3b9c, v45
	v_fmac_f16_e64 v138, 0xb8b4, v133
	v_fmac_f16_e32 v23, 0xb8b4, v123
	v_fmac_f16_e64 v136, 0x34f2, v19
	v_fmac_f16_e64 v134, 0xbb9c, v135
	v_fmac_f16_e32 v21, 0x38b4, v120
	v_fmac_f16_e64 v138, 0x34f2, v125
	v_fmac_f16_e32 v49, 0x3b9c, v116
	v_add_f16_e64 v18, v136, v131
	v_fmac_f16_e32 v23, 0x34f2, v42
	v_fmac_f16_e32 v21, 0x34f2, v44
	v_add_f16_e64 v139, v138, v121
	v_fmac_f16_e64 v134, 0xb8b4, v137
	v_fmac_f16_e64 v49, 0x38b4, v133
	v_mul_f16_e32 v44, 0x3a79, v23
	v_add_f16_e32 v109, v101, v102
	v_pack_b32_f16 v139, v18, v139
	v_add_f16_e32 v18, v99, v47
	v_sub_f16_e32 v47, v127, v124
	v_sub_f16_e32 v99, v110, v112
	v_fma_f16 v110, 0xbb9c, v137, v22
	v_fmac_f16_e64 v22, 0x3b9c, v137
	v_fmac_f16_e64 v134, 0x34f2, v19
	v_fmac_f16_e32 v49, 0x34f2, v125
	v_add_f16_e32 v47, v47, v99
	v_add_f16_e32 v99, v100, v17
	v_sub_f16_e32 v100, v111, v17
	v_add_f16_e32 v17, v126, v20
	v_sub_f16_e32 v20, v107, v20
	v_fmac_f16_e64 v110, 0x38b4, v135
	v_fmac_f16_e32 v98, -0.5, v99
	v_fma_f16 v99, 0x3b9c, v133, v115
	v_fmac_f16_e32 v122, -0.5, v17
	v_add_f16_e32 v20, v108, v20
	v_fmac_f16_e64 v115, 0xbb9c, v133
	v_fmamk_f16 v108, v123, 0xbb9c, v98
	v_fmac_f16_e32 v98, 0x3b9c, v123
	v_fmamk_f16 v107, v120, 0x3b9c, v122
	v_fmac_f16_e32 v122, 0xbb9c, v120
	v_add_f16_e32 v97, v97, v100
	v_fmac_f16_e32 v108, 0x38b4, v46
	v_fmac_f16_e32 v98, 0xb8b4, v46
	;; [unrolled: 1-line block ×12, first 2 shown]
	v_mul_f16_e32 v47, 0x34f2, v98
	v_fmac_f16_e64 v22, 0xb8b4, v135
	v_mul_f16_e32 v100, 0x3b9c, v107
	v_mul_f16_e32 v20, 0xbb9c, v108
	;; [unrolled: 1-line block ×3, first 2 shown]
	v_fma_f16 v46, v122, 0x3b9c, -v47
	v_mul_f16_e32 v47, 0x3a79, v21
	v_fmac_f16_e32 v110, 0x34f2, v18
	v_fmac_f16_e32 v22, 0x34f2, v18
	ds_load_2addr_b32 v[17:18], v29 offset0:80 offset1:188
	v_fmac_f16_e32 v100, 0x34f2, v108
	v_fmac_f16_e32 v20, 0x34f2, v107
	v_fma_f16 v45, v98, 0xbb9c, -v45
	v_fma_f16 v19, v21, 0x38b4, -v44
	;; [unrolled: 1-line block ×3, first 2 shown]
	v_add_f16_e32 v42, v110, v100
	v_add_f16_e32 v97, v99, v20
	;; [unrolled: 1-line block ×4, first 2 shown]
	v_sub_f16_e64 v47, v132, v129
	v_add_f16_e64 v98, v134, v19
	v_add_f16_e32 v107, v49, v21
	v_sub_f16_e64 v108, v128, v130
	v_pack_b32_f16 v42, v42, v97
	v_pack_b32_f16 v23, v23, v44
	global_wb scope:SCOPE_SE
	s_wait_loadcnt_dscnt 0x0
	v_pack_b32_f16 v44, v98, v107
	v_pack_b32_f16 v47, v47, v108
	s_barrier_signal -1
	s_barrier_wait -1
	global_inv scope:SCOPE_SE
	ds_store_2addr_b32 v91, v93, v139 offset1:9
	v_sub_f16_e64 v93, v136, v131
	v_sub_f16_e64 v97, v138, v121
	ds_store_2addr_b32 v91, v42, v23 offset0:18 offset1:27
	ds_store_2addr_b32 v91, v44, v47 offset0:36 offset1:45
	v_sub_f16_e32 v23, v110, v100
	v_sub_f16_e32 v20, v99, v20
	;; [unrolled: 1-line block ×3, first 2 shown]
	v_pack_b32_f16 v42, v93, v97
	v_sub_f16_e64 v19, v134, v19
	v_sub_f16_e32 v44, v115, v45
	v_sub_f16_e32 v21, v49, v21
	v_pack_b32_f16 v20, v23, v20
	v_lshrrev_b32_e32 v23, 16, v94
	v_lshrrev_b32_e32 v45, 16, v17
	v_pack_b32_f16 v22, v22, v44
	v_pack_b32_f16 v19, v19, v21
	ds_store_2addr_b32 v91, v42, v20 offset0:54 offset1:63
	v_mul_f16_e32 v20, v17, v23
	v_mul_f16_e32 v46, v45, v23
	v_add_f16_e32 v23, v119, v41
	ds_store_2addr_b32 v91, v22, v19 offset0:72 offset1:81
	v_add_f16_e32 v22, v118, v113
	v_fmac_f16_e32 v20, v45, v94
	v_fma_f16 v17, v17, v94, -v46
	v_fma_f16 v23, -0.5, v23, v15
	v_sub_f16_e32 v42, v43, v119
	v_fma_f16 v22, -0.5, v22, v101
	v_sub_f16_e32 v47, v102, v20
	v_sub_f16_e32 v46, v43, v17
	;; [unrolled: 1-line block ×6, first 2 shown]
	v_fmamk_f16 v93, v46, 0xbb9c, v22
	v_fmamk_f16 v97, v47, 0x3b9c, v23
	v_sub_f16_e32 v98, v118, v113
	v_add_f16_e32 v49, v49, v91
	v_add_f16_e32 v42, v42, v45
	v_fmac_f16_e32 v93, 0xb8b4, v94
	v_sub_f16_e32 v99, v106, v105
	v_fmac_f16_e32 v97, 0x38b4, v98
	v_sub_f16_e32 v45, v114, v117
	v_sub_f16_e32 v91, v104, v103
	v_fmac_f16_e32 v93, 0x34f2, v49
	v_sub_f16_e32 v100, v50, v48
	v_fmac_f16_e32 v97, 0x34f2, v42
	v_add_f16_e32 v45, v99, v45
	v_lshrrev_b32_e32 v107, 16, v96
	v_mul_f16_e32 v99, 0x38b4, v93
	v_add_f16_e32 v91, v91, v100
	v_mul_f16_e32 v100, 0xb8b4, v97
	v_add_f16_e32 v110, v105, v117
	v_add_f16_e32 v111, v103, v48
	v_fmac_f16_e32 v99, 0x3a79, v97
	v_add_f16_e32 v97, v96, v106
	v_fmac_f16_e32 v100, 0x3a79, v93
	v_add_f16_e32 v93, v107, v104
	v_add_f16_e32 v108, v15, v43
	v_fma_f16 v110, -0.5, v110, v96
	v_sub_f16_e32 v112, v104, v50
	v_fma_f16 v111, -0.5, v111, v107
	v_sub_f16_e32 v115, v106, v114
	v_add_f16_e32 v97, v97, v105
	v_add_f16_e32 v93, v93, v103
	;; [unrolled: 1-line block ×4, first 2 shown]
	v_fmamk_f16 v116, v112, 0x3b9c, v110
	v_sub_f16_e32 v120, v103, v48
	v_fmamk_f16 v121, v115, 0xbb9c, v111
	v_sub_f16_e32 v122, v105, v117
	v_add_f16_e32 v97, v97, v117
	v_add_f16_e32 v93, v93, v48
	;; [unrolled: 1-line block ×4, first 2 shown]
	v_fmac_f16_e32 v116, 0x38b4, v120
	v_fmac_f16_e32 v121, 0xb8b4, v122
	v_add_f16_e32 v125, v106, v114
	v_lshrrev_b32_e32 v21, 16, v18
	v_lshrrev_b32_e32 v44, 16, v92
	v_add_f16_e32 v97, v97, v114
	v_add_f16_e32 v93, v93, v50
	;; [unrolled: 1-line block ×4, first 2 shown]
	v_fmac_f16_e32 v116, 0x34f2, v45
	v_fmac_f16_e32 v121, 0x34f2, v91
	v_fmac_f16_e32 v96, -0.5, v125
	v_mul_f16_e32 v19, v21, v44
	v_mul_f16_e32 v44, v18, v44
	v_add_f16_e32 v123, v97, v108
	v_add_f16_e32 v124, v93, v109
	;; [unrolled: 1-line block ×4, first 2 shown]
	v_sub_f16_e32 v105, v105, v106
	v_sub_f16_e32 v106, v117, v114
	v_fmamk_f16 v114, v120, 0xbb9c, v96
	v_fmac_f16_e32 v96, 0x3b9c, v120
	v_fma_f16 v18, v18, v92, -v19
	v_add3_u32 v19, 0, v90, v89
	v_pack_b32_f16 v89, v123, v124
	v_pack_b32_f16 v90, v126, v127
	v_fmac_f16_e32 v44, v21, v92
	v_add_f16_e32 v21, v105, v106
	v_fmac_f16_e32 v114, 0x38b4, v112
	v_fmac_f16_e32 v96, 0xb8b4, v112
	ds_store_2addr_b32 v19, v89, v90 offset1:9
	v_add_f16_e32 v89, v104, v50
	v_sub_f16_e32 v48, v48, v50
	v_fmac_f16_e32 v114, 0x34f2, v21
	v_fmac_f16_e32 v96, 0x34f2, v21
	v_add_f16_e32 v21, v102, v20
	v_add_f16_e32 v50, v43, v17
	v_fmac_f16_e32 v107, -0.5, v89
	v_sub_f16_e32 v43, v119, v43
	v_sub_f16_e32 v17, v41, v17
	v_fmac_f16_e32 v101, -0.5, v21
	v_fmac_f16_e32 v15, -0.5, v50
	v_sub_f16_e32 v41, v118, v102
	v_sub_f16_e32 v20, v113, v20
	v_add_f16_e32 v17, v43, v17
	v_fmamk_f16 v50, v94, 0x3b9c, v101
	v_fmamk_f16 v89, v98, 0xbb9c, v15
	v_sub_f16_e32 v90, v103, v104
	v_add_f16_e32 v20, v41, v20
	v_fmamk_f16 v21, v122, 0x3b9c, v107
	v_fmac_f16_e32 v50, 0xb8b4, v46
	v_fmac_f16_e32 v89, 0x38b4, v47
	v_fmac_f16_e32 v15, 0x3b9c, v98
	v_fmac_f16_e32 v101, 0xbb9c, v94
	v_add_f16_e32 v48, v90, v48
	v_fmac_f16_e32 v50, 0x34f2, v20
	v_fmac_f16_e32 v89, 0x34f2, v17
	;; [unrolled: 1-line block ×6, first 2 shown]
	v_mul_f16_e32 v41, 0x3b9c, v50
	v_mul_f16_e32 v43, 0xbb9c, v89
	v_fmac_f16_e32 v107, 0x38b4, v115
	v_fmac_f16_e32 v21, 0x34f2, v48
	;; [unrolled: 1-line block ×8, first 2 shown]
	v_mul_f16_e32 v17, 0x34f2, v15
	v_mul_f16_e32 v20, 0x34f2, v101
	v_add_f16_e32 v48, v114, v41
	v_add_f16_e32 v50, v21, v43
	v_fmac_f16_e32 v23, 0xbb9c, v47
	v_fmac_f16_e32 v22, 0x38b4, v94
	v_fma_f16 v17, v101, 0x3b9c, -v17
	v_fma_f16 v15, v15, 0xbb9c, -v20
	v_pack_b32_f16 v20, v48, v50
	v_fmac_f16_e32 v23, 0xb8b4, v98
	v_fmac_f16_e32 v22, 0x34f2, v49
	v_sub_f16_e32 v49, v13, v5
	v_sub_f16_e32 v50, v16, v14
	v_add_f16_e32 v46, v96, v17
	v_add_f16_e32 v47, v107, v15
	v_fmac_f16_e32 v111, 0x3b9c, v115
	v_fmac_f16_e32 v23, 0x34f2, v42
	v_add_f16_e32 v48, v5, v14
	v_add_f16_e32 v49, v49, v50
	;; [unrolled: 1-line block ×3, first 2 shown]
	v_pack_b32_f16 v42, v46, v47
	v_fmac_f16_e32 v111, 0x38b4, v122
	v_mul_f16_e32 v46, 0x3a79, v23
	v_sub_f16_e32 v21, v21, v43
	v_fma_f16 v43, -0.5, v48, v95
	v_sub_f16_e32 v48, v12, v7
	v_lshrrev_b32_e32 v89, 16, v95
	v_add_f16_e32 v90, v95, v13
	v_sub_f16_e32 v92, v4, v6
	v_fmac_f16_e32 v95, -0.5, v50
	ds_store_2addr_b32 v19, v20, v42 offset0:18 offset1:27
	v_fmac_f16_e32 v111, 0x34f2, v91
	v_fma_f16 v20, v22, 0x38b4, -v46
	v_sub_f16_e32 v46, v93, v109
	v_fmamk_f16 v91, v48, 0x3b9c, v43
	v_fmac_f16_e32 v43, 0xbb9c, v48
	v_sub_f16_e32 v50, v5, v13
	v_sub_f16_e32 v93, v14, v16
	v_fmamk_f16 v94, v92, 0xbb9c, v95
	v_fmac_f16_e32 v95, 0x3b9c, v92
	v_add_f16_e32 v90, v90, v5
	v_fmac_f16_e32 v91, 0x38b4, v92
	v_fmac_f16_e32 v43, 0xb8b4, v92
	v_add_f16_e32 v50, v50, v93
	v_fmac_f16_e32 v94, 0x38b4, v48
	;; [unrolled: 3-line block ×3, first 2 shown]
	v_fmac_f16_e32 v43, 0x34f2, v49
	v_fmac_f16_e32 v94, 0x34f2, v50
	;; [unrolled: 1-line block ×3, first 2 shown]
	v_add_f16_e32 v49, v90, v16
	v_add_f16_e32 v50, v89, v12
	;; [unrolled: 1-line block ×3, first 2 shown]
	v_sub_f16_e32 v13, v13, v16
	v_sub_f16_e32 v16, v12, v4
	;; [unrolled: 1-line block ×3, first 2 shown]
	v_add_f16_e32 v50, v50, v4
	v_fma_f16 v90, -0.5, v90, v89
	v_sub_f16_e32 v5, v5, v14
	v_add_f16_e32 v14, v12, v7
	v_add_f16_e32 v16, v16, v92
	v_add_f16_e32 v50, v50, v6
	v_fmamk_f16 v92, v13, 0xbb9c, v90
	v_fmac_f16_e32 v90, 0x3b9c, v13
	v_fmac_f16_e32 v89, -0.5, v14
	v_sub_f16_e32 v4, v4, v12
	v_add_f16_e32 v12, v50, v7
	v_fmac_f16_e32 v92, 0xb8b4, v5
	v_fmac_f16_e32 v90, 0x38b4, v5
	v_sub_f16_e32 v6, v6, v7
	v_fmamk_f16 v7, v5, 0x3b9c, v89
	v_fmac_f16_e32 v89, 0xbb9c, v5
	v_add_f16_e32 v5, v2, v3
	v_fmac_f16_e32 v92, 0x34f2, v16
	v_fmac_f16_e32 v90, 0x34f2, v16
	v_add_f16_e32 v4, v4, v6
	v_fmac_f16_e32 v7, 0xb8b4, v13
	v_sub_f16_e32 v6, v11, v2
	v_sub_f16_e32 v14, v18, v3
	v_fma_f16 v5, -0.5, v5, v9
	v_sub_f16_e32 v16, v10, v44
	v_fmac_f16_e32 v89, 0x38b4, v13
	v_add_f16_e32 v13, v11, v18
	v_mul_f16_e32 v47, 0x3a79, v22
	v_add_f16_e32 v6, v6, v14
	v_add_f16_e32 v14, v9, v11
	v_fmamk_f16 v50, v16, 0x3b9c, v5
	v_sub_f16_e32 v93, v1, v0
	v_fmac_f16_e32 v9, -0.5, v13
	v_fmac_f16_e32 v5, 0xbb9c, v16
	v_fma_f16 v22, v23, 0xb8b4, -v47
	v_sub_f16_e32 v23, v97, v108
	v_sub_f16_e32 v17, v96, v17
	;; [unrolled: 1-line block ×4, first 2 shown]
	v_fmac_f16_e32 v50, 0x38b4, v93
	v_fmamk_f16 v97, v93, 0xbb9c, v9
	v_fmac_f16_e32 v9, 0x3b9c, v93
	v_fmac_f16_e32 v5, 0xb8b4, v93
	v_add_f16_e32 v13, v13, v96
	v_add_f16_e32 v14, v14, v2
	v_fmac_f16_e32 v97, 0x38b4, v16
	v_fmac_f16_e32 v9, 0xb8b4, v16
	;; [unrolled: 1-line block ×4, first 2 shown]
	v_sub_f16_e32 v6, v11, v18
	v_add_f16_e32 v11, v1, v0
	v_fmac_f16_e32 v7, 0x34f2, v4
	v_fmac_f16_e32 v89, 0x34f2, v4
	v_add_f16_e32 v4, v14, v3
	v_fmac_f16_e32 v97, 0x34f2, v13
	v_fmac_f16_e32 v9, 0x34f2, v13
	v_sub_f16_e32 v2, v2, v3
	v_add_f16_e32 v3, v10, v44
	v_add_f16_e32 v13, v8, v10
	v_fma_f16 v11, -0.5, v11, v8
	v_sub_f16_e32 v14, v10, v1
	v_sub_f16_e32 v16, v44, v0
	v_fmac_f16_e32 v8, -0.5, v3
	v_add_f16_e32 v3, v13, v1
	v_sub_f16_e32 v1, v1, v10
	v_fmamk_f16 v10, v6, 0xbb9c, v11
	v_add_f16_e32 v4, v4, v18
	v_sub_f16_e32 v13, v0, v44
	v_fmamk_f16 v18, v2, 0x3b9c, v8
	v_add_f16_e32 v14, v14, v16
	v_fmac_f16_e32 v10, 0xb8b4, v2
	v_fmac_f16_e32 v11, 0x3b9c, v6
	;; [unrolled: 1-line block ×4, first 2 shown]
	v_add_f16_e32 v0, v3, v0
	v_add_f16_e32 v1, v1, v13
	v_fmac_f16_e32 v10, 0x34f2, v14
	v_fmac_f16_e32 v11, 0x38b4, v2
	;; [unrolled: 1-line block ×3, first 2 shown]
	v_mul_f16_e32 v3, 0xb8b4, v50
	v_fmac_f16_e32 v18, 0xb8b4, v6
	v_fmac_f16_e32 v110, 0xb8b4, v120
	v_mul_f16_e32 v2, 0x38b4, v10
	v_fmac_f16_e32 v11, 0x34f2, v14
	v_fmac_f16_e32 v8, 0x34f2, v1
	;; [unrolled: 1-line block ×3, first 2 shown]
	v_mul_f16_e32 v10, 0x34f2, v9
	v_mul_f16_e32 v14, 0x3a79, v5
	v_fmac_f16_e32 v18, 0x34f2, v1
	v_fmac_f16_e32 v110, 0x34f2, v45
	v_add_f16_e32 v0, v0, v44
	v_fmac_f16_e32 v2, 0x3a79, v50
	v_mul_f16_e32 v1, 0xbb9c, v97
	v_mul_f16_e32 v13, 0x34f2, v8
	v_fma_f16 v8, v8, 0x3b9c, -v10
	v_fma_f16 v10, v11, 0x38b4, -v14
	v_mul_f16_e32 v6, 0x3b9c, v18
	v_mul_f16_e32 v16, 0x3a79, v11
	v_add_f16_e32 v45, v110, v20
	v_add_f16_e32 v48, v111, v22
	v_fmac_f16_e32 v1, 0x34f2, v18
	v_fma_f16 v9, v9, 0xbb9c, -v13
	v_add_f16_e32 v13, v91, v2
	v_add_f16_e32 v18, v43, v10
	v_sub_f16_e32 v10, v43, v10
	v_add_f16_e32 v43, v12, v0
	v_sub_f16_e32 v0, v12, v0
	v_add_f16_e32 v12, v92, v3
	v_fmac_f16_e32 v6, 0x34f2, v97
	v_sub_f16_e32 v42, v116, v99
	v_sub_f16_e32 v41, v114, v41
	;; [unrolled: 1-line block ×3, first 2 shown]
	v_fma_f16 v5, v5, 0xb8b4, -v16
	v_sub_f16_e32 v20, v110, v20
	v_sub_f16_e32 v15, v107, v15
	;; [unrolled: 1-line block ×3, first 2 shown]
	v_pack_b32_f16 v45, v45, v48
	v_pack_b32_f16 v23, v23, v46
	v_mul_u32_u24_e32 v46, 0x168, v87
	v_lshlrev_b32_e32 v48, 2, v88
	v_pack_b32_f16 v12, v13, v12
	v_add_nc_u32_e32 v13, 0xffffffa6, v24
	v_add_f16_e32 v11, v49, v4
	v_add_f16_e32 v14, v94, v6
	;; [unrolled: 1-line block ×4, first 2 shown]
	v_sub_f16_e32 v1, v7, v1
	v_add_f16_e32 v7, v89, v9
	v_sub_f16_e32 v4, v49, v4
	v_add_f16_e32 v49, v90, v5
	v_pack_b32_f16 v42, v42, v47
	v_pack_b32_f16 v21, v41, v21
	v_sub_f16_e32 v2, v91, v2
	v_sub_f16_e32 v6, v94, v6
	;; [unrolled: 1-line block ×3, first 2 shown]
	v_pack_b32_f16 v15, v17, v15
	v_pack_b32_f16 v17, v20, v22
	v_add3_u32 v22, 0, v46, v48
	s_wait_alu 0xf1ff
	v_cndmask_b32_e64 v46, v13, v24, s0
	v_sub_f16_e32 v8, v95, v8
	v_sub_f16_e32 v9, v89, v9
	;; [unrolled: 1-line block ×3, first 2 shown]
	v_pack_b32_f16 v11, v11, v43
	ds_store_2addr_b32 v19, v45, v23 offset0:36 offset1:45
	ds_store_2addr_b32 v19, v42, v21 offset0:54 offset1:63
	;; [unrolled: 1-line block ×3, first 2 shown]
	ds_store_2addr_b32 v22, v11, v12 offset1:9
	v_pack_b32_f16 v11, v14, v44
	v_pack_b32_f16 v7, v16, v7
	;; [unrolled: 1-line block ×4, first 2 shown]
	v_mul_i32_i24_e32 v19, 5, v46
	v_mov_b32_e32 v20, 0
	v_pack_b32_f16 v2, v2, v3
	v_pack_b32_f16 v3, v6, v1
	;; [unrolled: 1-line block ×4, first 2 shown]
	ds_store_2addr_b32 v22, v11, v7 offset0:18 offset1:27
	ds_store_2addr_b32 v22, v12, v4 offset0:36 offset1:45
	;; [unrolled: 1-line block ×4, first 2 shown]
	v_mul_lo_u16 v4, 0xb7, v86
	v_lshlrev_b64_e32 v[0:1], 2, v[19:20]
	global_wb scope:SCOPE_SE
	s_wait_dscnt 0x0
	s_barrier_signal -1
	s_barrier_wait -1
	v_lshrrev_b16 v45, 14, v4
	global_inv scope:SCOPE_SE
	v_add_co_u32 v49, s0, s8, v0
	s_wait_alu 0xf1ff
	v_add_co_ci_u32_e64 v50, s0, s9, v1, s0
	v_mul_lo_u16 v4, 0x5a, v45
	v_mul_u32_u24_e32 v5, 0x2d83, v85
	v_mul_u32_u24_e32 v9, 0x2d83, v84
	global_load_b128 v[0:3], v[49:50], off offset:348
	v_mul_u32_u24_e32 v13, 0x2d83, v83
	v_sub_nc_u16 v4, v28, v4
	v_lshrrev_b32_e32 v23, 20, v5
	v_lshrrev_b32_e32 v21, 20, v9
	v_cmp_lt_u32_e64 s0, 0x59, v24
	v_lshrrev_b32_e32 v42, 20, v13
	v_and_b32_e32 v44, 0xff, v4
	v_mul_lo_u16 v8, 0x5a, v23
	v_mul_lo_u16 v12, 0x5a, v21
	v_and_b32_e32 v45, 0xffff, v45
	v_mul_u32_u24_e32 v21, 0x870, v21
	v_mul_u32_u24_e32 v4, 5, v44
	v_sub_nc_u16 v8, v40, v8
	v_sub_nc_u16 v12, v39, v12
	v_mul_u32_u24_e32 v45, 0x870, v45
	v_lshlrev_b32_e32 v44, 2, v44
	v_lshlrev_b32_e32 v47, 2, v4
	v_and_b32_e32 v41, 0xffff, v8
	v_and_b32_e32 v22, 0xffff, v12
	s_delay_alu instid0(VALU_DEP_4) | instskip(SKIP_4) | instid1(VALU_DEP_3)
	v_add3_u32 v44, 0, v45, v44
	global_load_b128 v[4:7], v47, s[8:9] offset:348
	v_mul_u32_u24_e32 v8, 5, v41
	v_mul_u32_u24_e32 v12, 5, v22
	v_lshlrev_b32_e32 v22, 2, v22
	v_lshlrev_b32_e32 v48, 2, v8
	s_delay_alu instid0(VALU_DEP_3)
	v_lshlrev_b32_e32 v87, 2, v12
	v_mul_lo_u16 v12, 0x5a, v42
	s_clause 0x1
	global_load_b128 v[8:11], v48, s[8:9] offset:348
	global_load_b128 v[16:19], v87, s[8:9] offset:348
	v_sub_nc_u16 v12, v38, v12
	s_delay_alu instid0(VALU_DEP_1) | instskip(NEXT) | instid1(VALU_DEP_1)
	v_and_b32_e32 v43, 0xffff, v12
	v_mul_u32_u24_e32 v12, 5, v43
	s_delay_alu instid0(VALU_DEP_1)
	v_lshlrev_b32_e32 v88, 2, v12
	s_clause 0x3
	global_load_b128 v[12:15], v88, s[8:9] offset:348
	global_load_b32 v50, v[49:50], off offset:364
	global_load_b32 v91, v47, s[8:9] offset:364
	global_load_b32 v92, v48, s[8:9] offset:364
	ds_load_b32 v89, v82
	ds_load_2addr_b32 v[48:49], v69 offset0:56 offset1:164
	ds_load_2addr_b32 v[83:84], v68 offset0:104 offset1:212
	;; [unrolled: 1-line block ×3, first 2 shown]
	s_clause 0x1
	global_load_b32 v96, v87, s[8:9] offset:364
	global_load_b32 v100, v88, s[8:9] offset:364
	ds_load_b32 v47, v79
	ds_load_u16 v94, v51 offset:6482
	ds_load_b32 v103, v61
	ds_load_b32 v104, v81
	;; [unrolled: 1-line block ×4, first 2 shown]
	s_wait_dscnt 0x9
	v_lshrrev_b32_e32 v93, 16, v89
	s_wait_dscnt 0x8
	v_lshrrev_b32_e32 v107, 16, v49
	;; [unrolled: 2-line block ×3, first 2 shown]
	v_lshrrev_b32_e32 v109, 16, v86
	s_wait_loadcnt 0x9
	v_lshrrev_b32_e32 v90, 16, v0
	v_lshrrev_b32_e32 v87, 16, v1
	;; [unrolled: 1-line block ×4, first 2 shown]
	s_delay_alu instid0(VALU_DEP_4) | instskip(SKIP_2) | instid1(VALU_DEP_3)
	v_mul_f16_e32 v95, v90, v93
	v_mul_f16_e32 v98, v90, v89
	;; [unrolled: 1-line block ×3, first 2 shown]
	v_fma_f16 v95, v0, v89, -v95
	v_lshrrev_b32_e32 v89, 16, v48
	s_delay_alu instid0(VALU_DEP_4)
	v_fmac_f16_e32 v98, v0, v93
	v_mul_f16_e32 v93, v97, v84
	s_wait_dscnt 0x4
	v_mul_f16_e32 v97, v94, v97
	v_mul_f16_e32 v0, v87, v89
	v_fmac_f16_e32 v99, v1, v89
	ds_load_2addr_b32 v[87:88], v67 offset0:136 offset1:244
	ds_load_2addr_b32 v[89:90], v66 offset0:64 offset1:172
	v_fmac_f16_e32 v93, v94, v2
	v_mul_f16_e32 v94, v85, v101
	s_wait_loadcnt 0x8
	v_lshrrev_b32_e32 v110, 16, v7
	v_lshrrev_b32_e32 v108, 16, v5
	v_mul_f16_e32 v101, v102, v101
	v_fma_f16 v48, v1, v48, -v0
	v_fmac_f16_e32 v94, v102, v3
	v_mul_f16_e32 v0, v109, v110
	v_mul_f16_e32 v102, v107, v108
	v_fma_f16 v84, v2, v84, -v97
	v_fma_f16 v85, v85, v3, -v101
	v_lshrrev_b32_e32 v2, 16, v4
	v_fma_f16 v101, v86, v7, -v0
	ds_load_2addr_b32 v[0:1], v64 offset0:16 offset1:124
	v_fma_f16 v97, v49, v5, -v102
	v_mul_f16_e32 v49, v49, v108
	v_lshrrev_b32_e32 v3, 16, v6
	v_mul_f16_e32 v86, v86, v110
	s_wait_dscnt 0x2
	v_lshrrev_b32_e32 v102, 16, v87
	v_mul_f16_e32 v108, v87, v2
	s_wait_dscnt 0x1
	v_lshrrev_b32_e32 v110, 16, v89
	v_mul_f16_e32 v111, v89, v3
	v_fmac_f16_e32 v49, v107, v5
	v_mul_f16_e32 v112, v102, v2
	v_fmac_f16_e32 v108, v102, v4
	v_mul_f16_e32 v5, v110, v3
	v_lshrrev_b32_e32 v102, 16, v88
	s_wait_loadcnt 0x7
	v_lshrrev_b32_e32 v107, 16, v8
	ds_load_2addr_b32 v[2:3], v65 offset0:72 offset1:180
	v_fmac_f16_e32 v111, v110, v6
	v_lshrrev_b32_e32 v110, 16, v90
	v_lshrrev_b32_e32 v113, 16, v10
	v_mul_f16_e32 v114, v102, v107
	v_fma_f16 v89, v89, v6, -v5
	v_lshrrev_b32_e32 v5, 16, v9
	v_fmac_f16_e32 v86, v109, v7
	v_fma_f16 v87, v87, v4, -v112
	v_mul_f16_e32 v4, v110, v113
	v_fma_f16 v109, v88, v8, -v114
	v_mul_f16_e32 v88, v88, v107
	s_wait_dscnt 0x1
	v_lshrrev_b32_e32 v6, 16, v0
	v_mul_f16_e32 v112, v0, v5
	v_fma_f16 v107, v90, v10, -v4
	v_mul_f16_e32 v90, v90, v113
	v_fmac_f16_e32 v88, v102, v8
	v_mul_f16_e32 v8, v6, v5
	ds_load_2addr_b32 v[4:5], v63 offset0:96 offset1:204
	v_fmac_f16_e32 v112, v6, v9
	ds_load_2addr_b32 v[6:7], v62 offset0:24 offset1:132
	v_lshrrev_b32_e32 v102, 16, v11
	s_wait_dscnt 0x2
	v_lshrrev_b32_e32 v113, 16, v2
	v_fmac_f16_e32 v90, v110, v10
	v_lshrrev_b32_e32 v110, 16, v1
	s_wait_loadcnt 0x6
	v_lshrrev_b32_e32 v114, 16, v17
	v_mul_f16_e32 v10, v2, v102
	v_lshrrev_b32_e32 v115, 16, v3
	v_lshrrev_b32_e32 v116, 16, v19
	v_mul_f16_e32 v102, v113, v102
	v_fma_f16 v8, v0, v9, -v8
	v_fmac_f16_e32 v10, v113, v11
	v_mul_f16_e32 v113, v110, v114
	v_mul_f16_e32 v0, v115, v116
	v_fma_f16 v9, v2, v11, -v102
	v_lshrrev_b32_e32 v2, 16, v16
	v_mul_f16_e32 v102, v1, v114
	v_fma_f16 v11, v1, v17, -v113
	v_fma_f16 v113, v3, v19, -v0
	s_wait_dscnt 0x1
	v_lshrrev_b32_e32 v0, 16, v4
	v_mul_f16_e32 v114, v4, v2
	v_mul_f16_e32 v116, v3, v116
	v_lshrrev_b32_e32 v1, 16, v18
	s_wait_dscnt 0x0
	v_lshrrev_b32_e32 v3, 16, v6
	v_mul_f16_e32 v2, v0, v2
	v_fmac_f16_e32 v114, v0, v16
	v_fmac_f16_e32 v102, v110, v17
	v_mul_f16_e32 v17, v6, v1
	v_mul_f16_e32 v110, v3, v1
	ds_load_2addr_b32 v[0:1], v60 offset0:32 offset1:140
	v_fmac_f16_e32 v116, v115, v19
	s_wait_loadcnt 0x5
	v_lshrrev_b32_e32 v19, 16, v13
	v_fmac_f16_e32 v17, v3, v18
	v_lshrrev_b32_e32 v3, 16, v83
	v_lshrrev_b32_e32 v119, 16, v7
	;; [unrolled: 1-line block ×5, first 2 shown]
	v_fma_f16 v4, v4, v16, -v2
	v_mul_f16_e32 v2, v3, v19
	v_fma_f16 v6, v6, v18, -v110
	v_mul_f16_e32 v18, v119, v120
	v_mul_f16_e32 v115, v117, v118
	;; [unrolled: 1-line block ×3, first 2 shown]
	v_fma_f16 v110, v83, v13, -v2
	v_mul_f16_e32 v83, v7, v120
	v_fma_f16 v7, v7, v14, -v18
	s_wait_loadcnt 0x4
	v_lshrrev_b32_e32 v18, 16, v50
	v_fma_f16 v16, v5, v12, -v115
	s_wait_dscnt 0x0
	v_lshrrev_b32_e32 v2, 16, v1
	v_mul_f16_e32 v5, v5, v118
	v_fmac_f16_e32 v19, v3, v13
	v_fmac_f16_e32 v83, v119, v14
	v_mul_f16_e32 v14, v1, v18
	v_mul_f16_e32 v3, v2, v18
	v_fmac_f16_e32 v5, v117, v12
	v_lshrrev_b32_e32 v18, 16, v106
	v_add_f16_e32 v117, v99, v94
	v_fmac_f16_e32 v14, v2, v50
	v_fma_f16 v1, v1, v50, -v3
	v_add_f16_e32 v3, v48, v85
	v_add_f16_e32 v2, v106, v48
	;; [unrolled: 1-line block ×3, first 2 shown]
	v_sub_f16_e32 v48, v48, v85
	v_add_f16_e32 v50, v84, v1
	v_fmac_f16_e32 v106, -0.5, v3
	v_add_f16_e32 v3, v18, v99
	v_fmac_f16_e32 v18, -0.5, v117
	v_add_f16_e32 v117, v2, v85
	v_sub_f16_e32 v2, v99, v94
	v_add_f16_e32 v99, v93, v14
	v_fmac_f16_e32 v95, -0.5, v50
	v_sub_f16_e32 v50, v93, v14
	v_add_f16_e32 v93, v98, v93
	v_sub_f16_e32 v84, v84, v1
	v_fmac_f16_e32 v98, -0.5, v99
	v_lshrrev_b32_e32 v12, 16, v15
	v_fmamk_f16 v99, v50, 0x3aee, v95
	v_fmac_f16_e32 v95, 0xbaee, v50
	v_lshrrev_b32_e32 v115, 16, v0
	v_fmamk_f16 v50, v84, 0xbaee, v98
	v_fmac_f16_e32 v98, 0x3aee, v84
	v_fmamk_f16 v85, v2, 0x3aee, v106
	v_mul_f16_e32 v119, -0.5, v95
	v_fmac_f16_e32 v106, 0xbaee, v2
	v_add_f16_e32 v84, v3, v94
	v_mul_f16_e32 v120, -0.5, v98
	v_fmamk_f16 v94, v48, 0xbaee, v18
	v_fmac_f16_e32 v18, 0x3aee, v48
	v_fmac_f16_e32 v119, 0x3aee, v98
	v_add_f16_e32 v48, v118, v1
	v_fmac_f16_e32 v120, 0xbaee, v95
	v_add_f16_e32 v14, v93, v14
	v_mul_f16_e32 v13, v0, v12
	v_mul_f16_e32 v12, v115, v12
	v_lshlrev_b32_e32 v1, 2, v46
	s_wait_alu 0xf1ff
	v_cndmask_b32_e64 v2, 0, 0x870, s0
	v_add_f16_e32 v3, v106, v119
	v_add_f16_e32 v46, v18, v120
	v_sub_f16_e32 v93, v117, v48
	v_sub_f16_e32 v95, v84, v14
	v_fmac_f16_e32 v13, v115, v15
	v_fma_f16 v12, v0, v15, -v12
	v_add3_u32 v15, 0, v2, v1
	v_pack_b32_f16 v46, v3, v46
	ds_load_2addr_b32 v[0:1], v34 offset0:120 offset1:228
	ds_load_2addr_b32 v[2:3], v29 offset0:80 offset1:188
	v_pack_b32_f16 v93, v93, v95
	v_mul_f16_e32 v95, 0x3aee, v50
	v_mul_f16_e32 v98, 0xbaee, v99
	v_add_nc_u32_e32 v115, 0x200, v15
	v_add_f16_e32 v48, v117, v48
	v_add_f16_e32 v14, v84, v14
	v_fmac_f16_e32 v95, 0.5, v99
	v_fmac_f16_e32 v98, 0.5, v50
	global_wb scope:SCOPE_SE
	s_wait_loadcnt_dscnt 0x0
	s_barrier_signal -1
	s_barrier_wait -1
	global_inv scope:SCOPE_SE
	ds_store_2addr_b32 v115, v46, v93 offset0:52 offset1:142
	v_pack_b32_f16 v14, v48, v14
	v_add_f16_e32 v46, v85, v95
	v_add_f16_e32 v48, v94, v98
	v_sub_f16_e32 v50, v85, v95
	v_lshrrev_b32_e32 v85, 16, v91
	v_sub_f16_e32 v93, v94, v98
	v_add_f16_e32 v95, v49, v86
	v_pack_b32_f16 v46, v46, v48
	v_lshrrev_b32_e32 v48, 16, v0
	v_mul_f16_e32 v94, v0, v85
	v_pack_b32_f16 v50, v50, v93
	v_lshrrev_b32_e32 v93, 16, v103
	v_add_f16_e32 v98, v87, v89
	v_mul_f16_e32 v85, v48, v85
	v_fmac_f16_e32 v94, v48, v91
	v_add_f16_e32 v48, v97, v101
	v_add_f16_e32 v99, v108, v111
	v_sub_f16_e32 v84, v106, v119
	v_fma_f16 v0, v0, v91, -v85
	v_add_f16_e32 v85, v103, v97
	v_fmac_f16_e32 v103, -0.5, v48
	v_add_f16_e32 v48, v93, v49
	v_fmac_f16_e32 v93, -0.5, v95
	v_add_f16_e32 v91, v89, v0
	v_add_f16_e32 v95, v111, v94
	v_sub_f16_e32 v89, v89, v0
	v_add_f16_e32 v85, v85, v101
	v_sub_f16_e32 v49, v49, v86
	v_fmac_f16_e32 v87, -0.5, v91
	v_sub_f16_e32 v91, v111, v94
	v_fmac_f16_e32 v108, -0.5, v95
	v_sub_f16_e32 v95, v97, v101
	v_add_f16_e32 v48, v48, v86
	v_fmamk_f16 v97, v49, 0x3aee, v103
	v_fmamk_f16 v101, v91, 0x3aee, v87
	v_fmac_f16_e32 v87, 0xbaee, v91
	v_fmamk_f16 v91, v89, 0xbaee, v108
	v_fmac_f16_e32 v108, 0x3aee, v89
	v_fmac_f16_e32 v103, 0xbaee, v49
	v_fmamk_f16 v49, v95, 0xbaee, v93
	v_mul_f16_e32 v86, -0.5, v87
	v_mul_f16_e32 v106, 0x3aee, v91
	v_mul_f16_e32 v89, -0.5, v108
	v_fmac_f16_e32 v93, 0x3aee, v95
	v_add_f16_e32 v0, v98, v0
	v_fmac_f16_e32 v86, 0x3aee, v108
	v_mul_f16_e32 v108, 0xbaee, v101
	v_fmac_f16_e32 v89, 0xbaee, v87
	v_add_f16_e32 v87, v99, v94
	v_fmac_f16_e32 v106, 0.5, v101
	v_sub_f16_e32 v18, v18, v120
	v_fmac_f16_e32 v108, 0.5, v91
	v_add_f16_e32 v94, v103, v86
	v_add_f16_e32 v95, v93, v89
	v_sub_f16_e32 v98, v85, v0
	v_sub_f16_e32 v99, v48, v87
	v_add_f16_e32 v0, v85, v0
	v_add_f16_e32 v48, v48, v87
	;; [unrolled: 1-line block ×4, first 2 shown]
	v_pack_b32_f16 v18, v84, v18
	v_add_nc_u32_e32 v84, 0x400, v15
	v_pack_b32_f16 v45, v94, v95
	v_pack_b32_f16 v94, v98, v99
	v_add_nc_u32_e32 v91, 0x200, v44
	ds_store_2addr_b32 v15, v14, v46 offset1:90
	ds_store_2addr_b32 v84, v50, v18 offset0:104 offset1:194
	ds_store_2addr_b32 v91, v45, v94 offset0:52 offset1:142
	v_pack_b32_f16 v0, v0, v48
	v_pack_b32_f16 v14, v85, v87
	v_lshrrev_b32_e32 v15, 16, v1
	v_lshrrev_b32_e32 v18, 16, v92
	v_sub_f16_e32 v45, v97, v106
	v_sub_f16_e32 v46, v49, v108
	;; [unrolled: 1-line block ×4, first 2 shown]
	v_mul_f16_e32 v50, v15, v18
	ds_store_2addr_b32 v44, v0, v14 offset1:90
	v_mul_f16_e32 v14, v1, v18
	v_pack_b32_f16 v0, v45, v46
	v_pack_b32_f16 v18, v48, v49
	v_fma_f16 v1, v1, v92, -v50
	v_add_f16_e32 v45, v8, v9
	v_lshrrev_b32_e32 v46, 16, v104
	v_fmac_f16_e32 v14, v15, v92
	v_add_f16_e32 v15, v112, v10
	v_add_f16_e32 v48, v104, v8
	v_fmac_f16_e32 v104, -0.5, v45
	v_add_f16_e32 v45, v46, v112
	v_add_f16_e32 v49, v107, v1
	v_fmac_f16_e32 v46, -0.5, v15
	v_add_f16_e32 v15, v48, v9
	v_add_f16_e32 v48, v90, v14
	;; [unrolled: 1-line block ×3, first 2 shown]
	v_fmac_f16_e32 v109, -0.5, v49
	v_sub_f16_e32 v49, v90, v14
	v_add_f16_e32 v84, v88, v90
	v_fmac_f16_e32 v88, -0.5, v48
	v_sub_f16_e32 v48, v107, v1
	v_sub_f16_e32 v8, v8, v9
	;; [unrolled: 1-line block ×3, first 2 shown]
	v_fmamk_f16 v85, v49, 0x3aee, v109
	v_fmac_f16_e32 v109, 0xbaee, v49
	v_fmamk_f16 v49, v48, 0xbaee, v88
	v_fmac_f16_e32 v88, 0x3aee, v48
	;; [unrolled: 2-line block ×3, first 2 shown]
	v_add_f16_e32 v9, v45, v10
	v_mul_f16_e32 v10, -0.5, v109
	v_mul_f16_e32 v45, -0.5, v88
	v_fmamk_f16 v86, v8, 0xbaee, v46
	v_fmac_f16_e32 v46, 0x3aee, v8
	v_add_f16_e32 v1, v50, v1
	v_fmac_f16_e32 v10, 0x3aee, v88
	v_fmac_f16_e32 v45, 0xbaee, v109
	v_add_f16_e32 v8, v84, v14
	v_mul_u32_u24_e32 v14, 0x870, v23
	v_lshlrev_b32_e32 v23, 2, v41
	v_add_f16_e32 v41, v104, v10
	v_add_f16_e32 v50, v46, v45
	v_sub_f16_e32 v84, v15, v1
	v_sub_f16_e32 v87, v9, v8
	v_add3_u32 v14, 0, v14, v23
	v_add_nc_u32_e32 v23, 0x400, v44
	v_pack_b32_f16 v41, v41, v50
	v_lshrrev_b32_e32 v44, 16, v96
	v_pack_b32_f16 v50, v84, v87
	v_add_nc_u32_e32 v84, 0x200, v14
	v_lshrrev_b32_e32 v87, 16, v2
	ds_store_2addr_b32 v23, v0, v18 offset0:104 offset1:194
	ds_store_2addr_b32 v84, v41, v50 offset0:52 offset1:142
	v_mul_f16_e32 v23, 0x3aee, v49
	v_mul_f16_e32 v88, v2, v44
	;; [unrolled: 1-line block ×3, first 2 shown]
	v_add_f16_e32 v1, v15, v1
	v_add_f16_e32 v8, v9, v8
	v_fmac_f16_e32 v23, 0.5, v85
	v_fmac_f16_e32 v88, v87, v96
	v_fma_f16 v0, v2, v96, -v0
	v_mul_f16_e32 v2, 0xbaee, v85
	v_lshrrev_b32_e32 v44, 16, v105
	v_add_f16_e32 v9, v48, v23
	v_sub_f16_e32 v15, v48, v23
	v_add_f16_e32 v23, v11, v113
	v_sub_f16_e32 v45, v46, v45
	v_add_f16_e32 v46, v102, v116
	v_add_f16_e32 v48, v105, v11
	v_fmac_f16_e32 v2, 0.5, v49
	v_fmac_f16_e32 v105, -0.5, v23
	v_add_f16_e32 v23, v44, v102
	v_sub_f16_e32 v49, v102, v116
	v_fmac_f16_e32 v44, -0.5, v46
	v_add_f16_e32 v46, v48, v113
	v_add_f16_e32 v48, v6, v0
	;; [unrolled: 1-line block ×3, first 2 shown]
	v_lshrrev_b32_e32 v89, 16, v3
	v_lshrrev_b32_e32 v90, 16, v100
	v_sub_f16_e32 v11, v11, v113
	v_fmamk_f16 v50, v49, 0x3aee, v105
	v_fmac_f16_e32 v105, 0xbaee, v49
	v_add_f16_e32 v49, v4, v6
	v_fmac_f16_e32 v4, -0.5, v48
	v_add_f16_e32 v48, v114, v17
	v_fmac_f16_e32 v114, -0.5, v84
	v_sub_f16_e32 v6, v6, v0
	v_sub_f16_e32 v17, v17, v88
	v_mul_f16_e32 v18, v89, v90
	v_fmamk_f16 v84, v11, 0xbaee, v44
	v_fmac_f16_e32 v44, 0x3aee, v11
	v_fmamk_f16 v11, v6, 0xbaee, v114
	v_fmamk_f16 v85, v17, 0x3aee, v4
	v_fmac_f16_e32 v114, 0x3aee, v6
	v_mul_f16_e32 v41, v3, v90
	v_fma_f16 v3, v3, v100, -v18
	v_add_f16_e32 v18, v86, v2
	v_sub_f16_e32 v2, v86, v2
	v_fmac_f16_e32 v4, 0xbaee, v17
	v_mul_f16_e32 v6, 0x3aee, v11
	v_mul_f16_e32 v17, 0xbaee, v85
	v_mul_f16_e32 v86, -0.5, v114
	v_add_f16_e32 v23, v23, v116
	v_add_f16_e32 v48, v48, v88
	v_fmac_f16_e32 v6, 0.5, v85
	v_fmac_f16_e32 v17, 0.5, v11
	v_fmac_f16_e32 v86, 0xbaee, v4
	v_fmac_f16_e32 v41, v89, v100
	v_add_f16_e32 v85, v110, v12
	v_add_f16_e32 v11, v50, v6
	v_sub_f16_e32 v6, v50, v6
	v_add_f16_e32 v50, v23, v48
	v_sub_f16_e32 v23, v23, v48
	;; [unrolled: 2-line block ×3, first 2 shown]
	v_add_f16_e32 v84, v44, v86
	v_lshrrev_b32_e32 v87, 16, v47
	v_sub_f16_e32 v44, v44, v86
	v_add_f16_e32 v86, v19, v13
	v_add_f16_e32 v88, v47, v110
	v_fmac_f16_e32 v47, -0.5, v85
	v_add_f16_e32 v85, v87, v19
	v_sub_f16_e32 v19, v19, v13
	v_fmac_f16_e32 v87, -0.5, v86
	v_add_f16_e32 v86, v88, v12
	v_add_f16_e32 v88, v7, v3
	;; [unrolled: 1-line block ×3, first 2 shown]
	v_sub_f16_e32 v12, v110, v12
	v_fmamk_f16 v89, v19, 0x3aee, v47
	v_fmac_f16_e32 v47, 0xbaee, v19
	v_add_f16_e32 v19, v16, v7
	v_fmac_f16_e32 v16, -0.5, v88
	v_add_f16_e32 v88, v5, v83
	v_fmac_f16_e32 v5, -0.5, v90
	v_sub_f16_e32 v7, v7, v3
	v_sub_f16_e32 v83, v83, v41
	v_add_f16_e32 v0, v49, v0
	v_mul_f16_e32 v49, -0.5, v4
	v_add_f16_e32 v13, v85, v13
	v_fmamk_f16 v85, v12, 0xbaee, v87
	v_fmac_f16_e32 v87, 0x3aee, v12
	v_fmamk_f16 v12, v7, 0xbaee, v5
	v_fmamk_f16 v90, v83, 0x3aee, v16
	v_fmac_f16_e32 v16, 0xbaee, v83
	v_sub_f16_e32 v10, v104, v10
	v_fmac_f16_e32 v5, 0x3aee, v7
	v_pack_b32_f16 v1, v1, v8
	v_pack_b32_f16 v8, v9, v18
	v_add_f16_e32 v4, v46, v0
	v_fmac_f16_e32 v49, 0x3aee, v114
	v_add_f16_e32 v3, v19, v3
	v_mul_f16_e32 v7, 0x3aee, v12
	v_mul_f16_e32 v19, 0xbaee, v90
	v_mul_f16_e32 v83, -0.5, v16
	v_mul_f16_e32 v91, -0.5, v5
	ds_store_2addr_b32 v14, v1, v8 offset1:90
	v_pack_b32_f16 v1, v15, v2
	v_pack_b32_f16 v2, v10, v45
	v_add_nc_u32_e32 v8, 0x400, v14
	v_add3_u32 v10, 0, v21, v22
	v_pack_b32_f16 v4, v4, v50
	v_pack_b32_f16 v11, v11, v48
	v_sub_f16_e32 v0, v46, v0
	v_add_f16_e32 v46, v105, v49
	v_add_f16_e32 v41, v88, v41
	v_fmac_f16_e32 v7, 0.5, v90
	v_fmac_f16_e32 v19, 0.5, v12
	v_fmac_f16_e32 v83, 0x3aee, v5
	v_fmac_f16_e32 v91, 0xbaee, v16
	ds_store_2addr_b32 v8, v1, v2 offset0:104 offset1:194
	ds_store_2addr_b32 v10, v4, v11 offset1:90
	v_mul_u32_u24_e32 v1, 0x870, v42
	v_lshlrev_b32_e32 v2, 2, v43
	v_sub_f16_e32 v49, v105, v49
	v_add_f16_e32 v5, v86, v3
	v_add_f16_e32 v12, v89, v7
	;; [unrolled: 1-line block ×3, first 2 shown]
	v_sub_f16_e32 v47, v47, v83
	v_add_f16_e32 v83, v13, v41
	v_sub_f16_e32 v13, v13, v41
	v_add_f16_e32 v41, v85, v19
	v_pack_b32_f16 v14, v46, v84
	v_pack_b32_f16 v0, v0, v23
	v_add_nc_u32_e32 v15, 0x200, v10
	v_sub_f16_e32 v3, v86, v3
	v_add_f16_e32 v9, v87, v91
	v_add3_u32 v1, 0, v1, v2
	v_sub_f16_e32 v7, v89, v7
	v_sub_f16_e32 v19, v85, v19
	;; [unrolled: 1-line block ×3, first 2 shown]
	ds_store_2addr_b32 v15, v14, v0 offset0:52 offset1:142
	v_pack_b32_f16 v0, v6, v17
	v_pack_b32_f16 v4, v49, v44
	v_add_nc_u32_e32 v6, 0x400, v10
	v_pack_b32_f16 v2, v5, v83
	v_pack_b32_f16 v5, v12, v41
	v_mul_u32_u24_e32 v12, 5, v24
	v_pack_b32_f16 v8, v16, v9
	v_pack_b32_f16 v3, v3, v13
	v_add_nc_u32_e32 v9, 0x200, v1
	v_pack_b32_f16 v7, v7, v19
	v_pack_b32_f16 v10, v47, v18
	v_add_nc_u32_e32 v11, 0x400, v1
	ds_store_2addr_b32 v6, v0, v4 offset0:104 offset1:194
	ds_store_2addr_b32 v1, v2, v5 offset1:90
	ds_store_2addr_b32 v9, v8, v3 offset0:52 offset1:142
	ds_store_2addr_b32 v11, v7, v10 offset0:104 offset1:194
	v_lshlrev_b32_e32 v0, 2, v12
	v_mul_i32_i24_e32 v19, 5, v28
	global_wb scope:SCOPE_SE
	s_wait_dscnt 0x0
	s_barrier_signal -1
	s_barrier_wait -1
	global_inv scope:SCOPE_SE
	global_load_b128 v[1:4], v0, s[8:9] offset:2148
	v_lshlrev_b64_e32 v[5:6], 2, v[19:20]
	v_mul_i32_i24_e32 v19, 5, v40
	s_delay_alu instid0(VALU_DEP_2) | instskip(SKIP_1) | instid1(VALU_DEP_3)
	v_add_co_u32 v17, s0, s8, v5
	s_wait_alu 0xf1ff
	v_add_co_ci_u32_e64 v18, s0, s9, v6, s0
	s_delay_alu instid0(VALU_DEP_3)
	v_lshlrev_b64_e32 v[9:10], 2, v[19:20]
	v_mul_i32_i24_e32 v19, 5, v39
	global_load_b128 v[5:8], v[17:18], off offset:2148
	v_add_co_u32 v21, s0, s8, v9
	s_wait_alu 0xf1ff
	v_add_co_ci_u32_e64 v22, s0, s9, v10, s0
	v_lshlrev_b64_e32 v[13:14], 2, v[19:20]
	v_mul_i32_i24_e32 v19, 5, v38
	global_load_b128 v[9:12], v[21:22], off offset:2148
	v_add_co_u32 v45, s0, s8, v13
	s_wait_alu 0xf1ff
	v_add_co_ci_u32_e64 v46, s0, s9, v14, s0
	v_lshlrev_b64_e32 v[41:42], 2, v[19:20]
	global_load_b128 v[13:16], v[45:46], off offset:2148
	v_add_co_u32 v47, s0, s8, v41
	s_wait_alu 0xf1ff
	v_add_co_ci_u32_e64 v48, s0, s9, v42, s0
	s_clause 0x5
	global_load_b128 v[41:44], v[47:48], off offset:2148
	global_load_b32 v19, v0, s[8:9] offset:2164
	global_load_b32 v23, v[17:18], off offset:2164
	global_load_b32 v83, v[21:22], off offset:2164
	;; [unrolled: 1-line block ×4, first 2 shown]
	ds_load_2addr_b32 v[17:18], v70 offset0:112 offset1:220
	ds_load_2addr_b32 v[21:22], v67 offset0:136 offset1:244
	ds_load_b32 v67, v82
	ds_load_2addr_b32 v[45:46], v69 offset0:56 offset1:164
	ds_load_2addr_b32 v[47:48], v68 offset0:104 offset1:212
	;; [unrolled: 1-line block ×3, first 2 shown]
	ds_load_b32 v0, v79
	s_wait_dscnt 0x6
	v_lshrrev_b32_e32 v68, 16, v17
	v_lshrrev_b32_e32 v66, 16, v18
	s_wait_dscnt 0x4
	v_lshrrev_b32_e32 v82, 16, v67
	s_wait_dscnt 0x3
	;; [unrolled: 2-line block ×3, first 2 shown]
	v_lshrrev_b32_e32 v91, 16, v48
	v_lshrrev_b32_e32 v86, 16, v46
	;; [unrolled: 1-line block ×3, first 2 shown]
	s_wait_loadcnt 0x9
	v_lshrrev_b32_e32 v70, 16, v1
	v_lshrrev_b32_e32 v87, 16, v2
	;; [unrolled: 1-line block ×4, first 2 shown]
	s_delay_alu instid0(VALU_DEP_4) | instskip(SKIP_1) | instid1(VALU_DEP_3)
	v_mul_f16_e32 v88, v70, v82
	v_mul_f16_e32 v70, v70, v67
	;; [unrolled: 1-line block ×3, first 2 shown]
	s_delay_alu instid0(VALU_DEP_3)
	v_fma_f16 v67, v1, v67, -v88
	v_mul_f16_e32 v88, v87, v89
	v_mul_f16_e32 v87, v87, v45
	v_fmac_f16_e32 v70, v1, v82
	v_mul_f16_e32 v1, v68, v93
	v_mul_f16_e32 v82, v90, v48
	v_fma_f16 v45, v2, v45, -v88
	v_fmac_f16_e32 v87, v2, v89
	v_mul_f16_e32 v88, v17, v93
	s_wait_loadcnt 0x8
	v_lshrrev_b32_e32 v89, 16, v6
	v_fma_f16 v90, v17, v4, -v1
	v_lshrrev_b32_e32 v17, 16, v8
	v_fma_f16 v48, v3, v48, -v92
	v_fmac_f16_e32 v82, v3, v91
	v_mul_f16_e32 v1, v86, v89
	v_fmac_f16_e32 v88, v68, v4
	v_mul_f16_e32 v3, v66, v17
	v_lshrrev_b32_e32 v92, 16, v5
	s_wait_dscnt 0x1
	v_lshrrev_b32_e32 v68, 16, v49
	v_fma_f16 v93, v46, v6, -v1
	ds_load_2addr_b32 v[1:2], v64 offset0:16 offset1:124
	v_mul_f16_e32 v46, v46, v89
	v_fma_f16 v89, v18, v8, -v3
	ds_load_2addr_b32 v[3:4], v65 offset0:72 offset1:180
	v_mul_f16_e32 v64, v21, v92
	v_lshrrev_b32_e32 v65, 16, v7
	v_mul_f16_e32 v94, v18, v17
	v_mul_f16_e32 v17, v69, v92
	v_lshrrev_b32_e32 v91, 16, v22
	v_fmac_f16_e32 v64, v69, v5
	v_lshrrev_b32_e32 v69, 16, v50
	v_mul_f16_e32 v92, v49, v65
	v_fmac_f16_e32 v46, v86, v6
	s_wait_loadcnt 0x7
	v_lshrrev_b32_e32 v6, 16, v9
	v_fma_f16 v21, v21, v5, -v17
	v_mul_f16_e32 v5, v68, v65
	v_lshrrev_b32_e32 v17, 16, v11
	v_fmac_f16_e32 v92, v68, v7
	v_mul_f16_e32 v18, v91, v6
	v_fmac_f16_e32 v94, v66, v8
	v_fma_f16 v49, v49, v7, -v5
	v_mul_f16_e32 v7, v69, v17
	s_wait_dscnt 0x1
	v_lshrrev_b32_e32 v5, 16, v1
	v_fma_f16 v65, v22, v9, -v18
	v_mul_f16_e32 v22, v22, v6
	v_lshrrev_b32_e32 v6, 16, v10
	s_wait_dscnt 0x0
	v_lshrrev_b32_e32 v66, 16, v3
	v_fma_f16 v68, v50, v11, -v7
	v_mul_f16_e32 v50, v50, v17
	v_lshrrev_b32_e32 v17, 16, v12
	v_mul_f16_e32 v86, v5, v6
	v_mul_f16_e32 v95, v1, v6
	ds_load_2addr_b32 v[7:8], v63 offset0:96 offset1:204
	v_fmac_f16_e32 v22, v91, v9
	v_mul_f16_e32 v6, v66, v17
	v_mul_f16_e32 v63, v3, v17
	ds_load_2addr_b32 v[17:18], v62 offset0:24 offset1:132
	v_lshrrev_b32_e32 v9, 16, v2
	s_wait_loadcnt 0x6
	v_lshrrev_b32_e32 v62, 16, v14
	v_fma_f16 v86, v1, v10, -v86
	v_lshrrev_b32_e32 v1, 16, v4
	v_lshrrev_b32_e32 v91, 16, v16
	v_fmac_f16_e32 v95, v5, v10
	v_mul_f16_e32 v5, v9, v62
	v_fmac_f16_e32 v50, v69, v11
	v_fma_f16 v69, v3, v12, -v6
	v_mul_f16_e32 v3, v1, v91
	v_fmac_f16_e32 v63, v66, v12
	v_fma_f16 v66, v2, v14, -v5
	v_lshrrev_b32_e32 v5, 16, v13
	v_mul_f16_e32 v62, v2, v62
	v_fma_f16 v96, v4, v16, -v3
	v_lshrrev_b32_e32 v2, 16, v15
	s_wait_dscnt 0x1
	v_lshrrev_b32_e32 v3, 16, v7
	v_mul_f16_e32 v6, v7, v5
	v_mul_f16_e32 v91, v4, v91
	s_wait_dscnt 0x0
	v_lshrrev_b32_e32 v4, 16, v17
	v_fmac_f16_e32 v62, v9, v14
	ds_load_2addr_b32 v[9:10], v60 offset0:32 offset1:140
	v_mul_f16_e32 v97, v17, v2
	v_mul_f16_e32 v5, v3, v5
	v_fmac_f16_e32 v6, v3, v13
	v_mul_f16_e32 v2, v4, v2
	v_lshrrev_b32_e32 v14, 16, v8
	s_wait_loadcnt 0x5
	v_lshrrev_b32_e32 v3, 16, v41
	v_fmac_f16_e32 v97, v4, v15
	v_fmac_f16_e32 v91, v1, v16
	v_fma_f16 v16, v7, v13, -v5
	v_lshrrev_b32_e32 v5, 16, v47
	v_lshrrev_b32_e32 v4, 16, v42
	v_mul_f16_e32 v1, v14, v3
	v_fma_f16 v15, v17, v15, -v2
	v_lshrrev_b32_e32 v17, 16, v18
	v_lshrrev_b32_e32 v13, 16, v43
	v_mul_f16_e32 v7, v5, v4
	v_fma_f16 v1, v8, v41, -v1
	ds_load_2addr_b32 v[11:12], v34 offset0:120 offset1:228
	v_mul_f16_e32 v2, v8, v3
	v_mul_f16_e32 v8, v17, v13
	v_fma_f16 v7, v47, v42, -v7
	v_mul_f16_e32 v34, v47, v4
	v_mul_f16_e32 v3, v18, v13
	v_lshrrev_b32_e32 v47, 16, v44
	v_fma_f16 v4, v18, v43, -v8
	s_wait_dscnt 0x1
	v_lshrrev_b32_e32 v8, 16, v9
	v_fmac_f16_e32 v2, v14, v41
	s_wait_loadcnt 0x4
	v_lshrrev_b32_e32 v41, 16, v19
	ds_load_2addr_b32 v[13:14], v29 offset0:80 offset1:188
	v_fmac_f16_e32 v3, v17, v43
	v_mul_f16_e32 v17, v8, v47
	v_fmac_f16_e32 v34, v5, v42
	v_mul_f16_e32 v5, v9, v47
	v_lshrrev_b32_e32 v18, 16, v10
	s_wait_loadcnt 0x3
	v_lshrrev_b32_e32 v29, 16, v23
	v_fma_f16 v9, v9, v44, -v17
	v_mul_f16_e32 v17, v10, v41
	v_fmac_f16_e32 v5, v8, v44
	v_mul_f16_e32 v8, v18, v41
	s_wait_dscnt 0x1
	v_lshrrev_b32_e32 v42, 16, v11
	v_lshrrev_b32_e32 v41, 16, v12
	v_fmac_f16_e32 v17, v18, v19
	ds_load_b32 v18, v51
	v_fma_f16 v8, v10, v19, -v8
	v_mul_f16_e32 v10, v11, v29
	v_mul_f16_e32 v29, v42, v29
	s_wait_loadcnt 0x2
	v_lshrrev_b32_e32 v43, 16, v83
	s_wait_loadcnt 0x0
	v_lshrrev_b32_e32 v44, 16, v85
	v_fmac_f16_e32 v10, v42, v23
	v_fma_f16 v11, v11, v23, -v29
	v_mul_f16_e32 v19, v41, v43
	v_lshrrev_b32_e32 v23, 16, v84
	s_wait_dscnt 0x1
	v_lshrrev_b32_e32 v29, 16, v13
	v_lshrrev_b32_e32 v42, 16, v14
	v_mul_f16_e32 v43, v12, v43
	v_fma_f16 v12, v12, v83, -v19
	v_mul_f16_e32 v19, v13, v23
	v_mul_f16_e32 v23, v29, v23
	;; [unrolled: 1-line block ×4, first 2 shown]
	v_fmac_f16_e32 v43, v41, v83
	s_wait_dscnt 0x0
	v_lshrrev_b32_e32 v60, 16, v18
	v_fma_f16 v13, v13, v84, -v23
	v_add_f16_e32 v23, v45, v90
	v_fmac_f16_e32 v44, v42, v85
	v_add_f16_e32 v42, v87, v88
	v_add_f16_e32 v83, v18, v45
	v_fmac_f16_e32 v19, v29, v84
	v_fmac_f16_e32 v18, -0.5, v23
	v_add_f16_e32 v23, v60, v87
	v_sub_f16_e32 v84, v87, v88
	v_fmac_f16_e32 v60, -0.5, v42
	v_add_f16_e32 v42, v83, v90
	v_add_f16_e32 v83, v48, v8
	;; [unrolled: 1-line block ×3, first 2 shown]
	v_fma_f16 v14, v14, v85, -v47
	v_sub_f16_e32 v45, v45, v90
	v_fmamk_f16 v85, v84, 0x3aee, v18
	v_fmac_f16_e32 v18, 0xbaee, v84
	v_add_f16_e32 v84, v67, v48
	v_fmac_f16_e32 v67, -0.5, v83
	v_add_f16_e32 v83, v70, v82
	v_fmac_f16_e32 v70, -0.5, v87
	v_sub_f16_e32 v48, v48, v8
	v_sub_f16_e32 v82, v82, v17
	ds_load_b32 v29, v61
	ds_load_b32 v41, v81
	;; [unrolled: 1-line block ×3, first 2 shown]
	v_add_f16_e32 v23, v23, v88
	v_fmamk_f16 v87, v45, 0xbaee, v60
	v_fmac_f16_e32 v60, 0x3aee, v45
	v_fmamk_f16 v45, v48, 0xbaee, v70
	v_fmamk_f16 v88, v82, 0x3aee, v67
	v_fmac_f16_e32 v67, 0xbaee, v82
	v_fmac_f16_e32 v70, 0x3aee, v48
	v_add_f16_e32 v8, v84, v8
	v_mul_f16_e32 v48, 0x3aee, v45
	v_mul_f16_e32 v82, 0xbaee, v88
	v_mul_f16_e32 v84, -0.5, v67
	v_mul_f16_e32 v90, -0.5, v70
	v_add_f16_e32 v17, v83, v17
	v_fmac_f16_e32 v48, 0.5, v88
	v_fmac_f16_e32 v82, 0.5, v45
	v_fmac_f16_e32 v84, 0x3aee, v70
	v_fmac_f16_e32 v90, 0xbaee, v67
	v_add_f16_e32 v45, v42, v8
	v_sub_f16_e32 v8, v42, v8
	v_add_f16_e32 v42, v85, v48
	v_sub_f16_e32 v48, v85, v48
	;; [unrolled: 2-line block ×5, first 2 shown]
	v_add_f16_e32 v84, v93, v89
	s_wait_dscnt 0x2
	v_lshrrev_b32_e32 v85, 16, v29
	v_add_f16_e32 v87, v46, v94
	v_add_f16_e32 v88, v29, v93
	;; [unrolled: 1-line block ×3, first 2 shown]
	v_fmac_f16_e32 v29, -0.5, v84
	v_add_f16_e32 v84, v85, v46
	v_sub_f16_e32 v46, v46, v94
	v_fmac_f16_e32 v85, -0.5, v87
	v_add_f16_e32 v87, v88, v89
	v_sub_f16_e32 v88, v93, v89
	v_add_f16_e32 v89, v49, v11
	v_add_f16_e32 v93, v92, v10
	v_sub_f16_e32 v60, v60, v90
	v_fmamk_f16 v90, v46, 0x3aee, v29
	v_fmac_f16_e32 v29, 0xbaee, v46
	v_add_f16_e32 v46, v21, v49
	v_fmac_f16_e32 v21, -0.5, v89
	v_add_f16_e32 v89, v64, v92
	v_fmac_f16_e32 v64, -0.5, v93
	v_sub_f16_e32 v49, v49, v11
	v_sub_f16_e32 v92, v92, v10
	v_add_f16_e32 v84, v84, v94
	v_fmamk_f16 v93, v88, 0xbaee, v85
	v_fmac_f16_e32 v85, 0x3aee, v88
	v_fmamk_f16 v88, v49, 0xbaee, v64
	v_fmamk_f16 v94, v92, 0x3aee, v21
	v_fmac_f16_e32 v21, 0xbaee, v92
	v_fmac_f16_e32 v64, 0x3aee, v49
	v_add_f16_e32 v11, v46, v11
	v_mul_f16_e32 v46, 0x3aee, v88
	v_mul_f16_e32 v49, 0xbaee, v94
	v_mul_f16_e32 v92, -0.5, v21
	v_mul_f16_e32 v98, -0.5, v64
	v_add_f16_e32 v10, v89, v10
	v_fmac_f16_e32 v46, 0.5, v94
	v_fmac_f16_e32 v49, 0.5, v88
	v_fmac_f16_e32 v92, 0x3aee, v64
	v_fmac_f16_e32 v98, 0xbaee, v21
	v_add_f16_e32 v21, v87, v11
	v_sub_f16_e32 v11, v87, v11
	v_add_f16_e32 v64, v90, v46
	v_sub_f16_e32 v46, v90, v46
	;; [unrolled: 2-line block ×5, first 2 shown]
	v_add_f16_e32 v90, v86, v69
	s_wait_dscnt 0x1
	v_lshrrev_b32_e32 v92, 16, v41
	v_add_f16_e32 v93, v95, v63
	v_add_f16_e32 v94, v41, v86
	v_add_f16_e32 v89, v85, v98
	v_sub_f16_e32 v85, v85, v98
	v_fmac_f16_e32 v41, -0.5, v90
	v_add_f16_e32 v90, v92, v95
	v_sub_f16_e32 v95, v95, v63
	v_fmac_f16_e32 v92, -0.5, v93
	v_add_f16_e32 v93, v94, v69
	v_sub_f16_e32 v69, v86, v69
	v_add_f16_e32 v86, v68, v12
	v_add_f16_e32 v98, v50, v43
	v_fmamk_f16 v94, v95, 0x3aee, v41
	v_fmac_f16_e32 v41, 0xbaee, v95
	v_add_f16_e32 v95, v65, v68
	v_fmac_f16_e32 v65, -0.5, v86
	v_add_f16_e32 v86, v22, v50
	v_fmac_f16_e32 v22, -0.5, v98
	v_sub_f16_e32 v68, v68, v12
	v_sub_f16_e32 v50, v50, v43
	v_add_f16_e32 v63, v90, v63
	v_fmamk_f16 v90, v69, 0xbaee, v92
	v_fmac_f16_e32 v92, 0x3aee, v69
	v_fmamk_f16 v69, v68, 0xbaee, v22
	v_fmamk_f16 v98, v50, 0x3aee, v65
	v_fmac_f16_e32 v65, 0xbaee, v50
	v_fmac_f16_e32 v22, 0x3aee, v68
	v_add_f16_e32 v12, v95, v12
	v_mul_f16_e32 v50, 0x3aee, v69
	v_mul_f16_e32 v68, 0xbaee, v98
	v_mul_f16_e32 v95, -0.5, v65
	v_mul_f16_e32 v99, -0.5, v22
	v_add_f16_e32 v43, v86, v43
	v_fmac_f16_e32 v50, 0.5, v98
	v_fmac_f16_e32 v68, 0.5, v69
	v_fmac_f16_e32 v95, 0x3aee, v22
	v_fmac_f16_e32 v99, 0xbaee, v65
	v_add_f16_e32 v22, v93, v12
	v_sub_f16_e32 v12, v93, v12
	v_add_f16_e32 v65, v94, v50
	v_sub_f16_e32 v50, v94, v50
	;; [unrolled: 2-line block ×3, first 2 shown]
	v_add_f16_e32 v93, v66, v96
	s_wait_dscnt 0x0
	v_lshrrev_b32_e32 v94, 16, v47
	v_add_f16_e32 v95, v62, v91
	v_add_f16_e32 v98, v47, v66
	;; [unrolled: 1-line block ×3, first 2 shown]
	v_sub_f16_e32 v43, v63, v43
	v_add_f16_e32 v63, v90, v68
	v_sub_f16_e32 v68, v90, v68
	v_add_f16_e32 v90, v92, v99
	v_sub_f16_e32 v92, v92, v99
	v_fmac_f16_e32 v47, -0.5, v93
	v_add_f16_e32 v93, v94, v62
	v_sub_f16_e32 v62, v62, v91
	v_fmac_f16_e32 v94, -0.5, v95
	v_add_f16_e32 v95, v98, v96
	v_sub_f16_e32 v66, v66, v96
	v_add_f16_e32 v96, v15, v13
	v_add_f16_e32 v99, v97, v19
	v_fmamk_f16 v98, v62, 0x3aee, v47
	v_fmac_f16_e32 v47, 0xbaee, v62
	v_add_f16_e32 v62, v16, v15
	v_fmac_f16_e32 v16, -0.5, v96
	v_add_f16_e32 v96, v6, v97
	v_fmac_f16_e32 v6, -0.5, v99
	v_sub_f16_e32 v15, v15, v13
	v_sub_f16_e32 v97, v97, v19
	v_add_f16_e32 v91, v93, v91
	v_fmamk_f16 v93, v66, 0xbaee, v94
	v_fmac_f16_e32 v94, 0x3aee, v66
	v_fmamk_f16 v66, v15, 0xbaee, v6
	v_fmamk_f16 v99, v97, 0x3aee, v16
	v_fmac_f16_e32 v16, 0xbaee, v97
	v_fmac_f16_e32 v6, 0x3aee, v15
	v_add_f16_e32 v13, v62, v13
	v_mul_f16_e32 v15, 0x3aee, v66
	v_mul_f16_e32 v62, 0xbaee, v99
	v_mul_f16_e32 v97, -0.5, v16
	v_mul_f16_e32 v100, -0.5, v6
	v_add_f16_e32 v19, v96, v19
	v_fmac_f16_e32 v15, 0.5, v99
	v_fmac_f16_e32 v62, 0.5, v66
	v_fmac_f16_e32 v97, 0x3aee, v6
	v_fmac_f16_e32 v100, 0xbaee, v16
	v_add_f16_e32 v96, v7, v9
	v_add_f16_e32 v16, v98, v15
	v_sub_f16_e32 v15, v98, v15
	v_add_f16_e32 v66, v47, v97
	v_sub_f16_e32 v47, v47, v97
	v_lshrrev_b32_e32 v97, 16, v0
	v_add_f16_e32 v98, v34, v5
	v_add_f16_e32 v99, v0, v7
	v_fmac_f16_e32 v0, -0.5, v96
	v_sub_f16_e32 v7, v7, v9
	v_add_f16_e32 v96, v97, v34
	v_sub_f16_e32 v34, v34, v5
	v_fmac_f16_e32 v97, -0.5, v98
	v_add_f16_e32 v98, v99, v9
	v_add_f16_e32 v9, v4, v14
	;; [unrolled: 1-line block ×3, first 2 shown]
	v_sub_f16_e32 v13, v95, v13
	v_add_f16_e32 v95, v91, v19
	v_sub_f16_e32 v19, v91, v19
	v_add_f16_e32 v91, v93, v62
	;; [unrolled: 2-line block ×4, first 2 shown]
	v_fmamk_f16 v99, v34, 0x3aee, v0
	v_fmac_f16_e32 v0, 0xbaee, v34
	v_add_f16_e32 v34, v1, v4
	v_fmac_f16_e32 v1, -0.5, v9
	v_add_f16_e32 v9, v2, v3
	v_sub_f16_e32 v3, v3, v44
	v_fmac_f16_e32 v2, -0.5, v100
	v_sub_f16_e32 v4, v4, v14
	v_add_f16_e32 v5, v96, v5
	v_fmamk_f16 v96, v7, 0xbaee, v97
	v_fmamk_f16 v100, v3, 0x3aee, v1
	v_fmac_f16_e32 v1, 0xbaee, v3
	v_fmac_f16_e32 v97, 0x3aee, v7
	v_fmamk_f16 v7, v4, 0xbaee, v2
	v_fmac_f16_e32 v2, 0x3aee, v4
	v_pack_b32_f16 v45, v45, v70
	v_pack_b32_f16 v23, v42, v23
	v_add_f16_e32 v3, v34, v14
	v_mul_f16_e32 v34, -0.5, v1
	v_pack_b32_f16 v42, v67, v83
	v_mul_f16_e32 v4, 0x3aee, v7
	v_mul_f16_e32 v14, 0xbaee, v100
	v_pack_b32_f16 v8, v8, v17
	v_mul_f16_e32 v101, -0.5, v2
	v_pack_b32_f16 v17, v48, v82
	v_pack_b32_f16 v18, v18, v60
	global_wb scope:SCOPE_SE
	s_barrier_signal -1
	s_barrier_wait -1
	global_inv scope:SCOPE_SE
	ds_store_b32 v51, v45
	ds_store_b32 v51, v23 offset:2160
	ds_store_b32 v51, v42 offset:4320
	;; [unrolled: 1-line block ×5, first 2 shown]
	v_pack_b32_f16 v8, v21, v88
	v_pack_b32_f16 v17, v64, v84
	v_add_f16_e32 v9, v9, v44
	v_fmac_f16_e32 v34, 0x3aee, v2
	v_pack_b32_f16 v18, v87, v89
	v_fmac_f16_e32 v4, 0.5, v100
	v_fmac_f16_e32 v14, 0.5, v7
	v_pack_b32_f16 v10, v11, v10
	v_fmac_f16_e32 v101, 0xbaee, v1
	v_pack_b32_f16 v11, v46, v49
	v_pack_b32_f16 v21, v29, v85
	ds_store_b32 v61, v8
	ds_store_b32 v61, v17 offset:2160
	ds_store_b32 v61, v18 offset:4320
	;; [unrolled: 1-line block ×5, first 2 shown]
	v_pack_b32_f16 v8, v22, v86
	v_pack_b32_f16 v10, v65, v63
	v_add_f16_e32 v1, v98, v3
	v_add_f16_e32 v7, v0, v34
	v_sub_f16_e32 v0, v0, v34
	v_add_f16_e32 v34, v5, v9
	v_pack_b32_f16 v11, v69, v90
	v_sub_f16_e32 v2, v98, v3
	v_add_f16_e32 v3, v99, v4
	v_sub_f16_e32 v5, v5, v9
	v_add_f16_e32 v9, v96, v14
	v_pack_b32_f16 v12, v12, v43
	v_add_f16_e32 v44, v97, v101
	v_pack_b32_f16 v17, v50, v68
	v_pack_b32_f16 v6, v6, v95
	;; [unrolled: 1-line block ×3, first 2 shown]
	ds_store_b32 v81, v8
	ds_store_b32 v81, v10 offset:2160
	ds_store_b32 v81, v11 offset:4320
	;; [unrolled: 1-line block ×5, first 2 shown]
	v_pack_b32_f16 v8, v16, v91
	v_sub_f16_e32 v4, v99, v4
	v_sub_f16_e32 v14, v96, v14
	v_pack_b32_f16 v10, v66, v93
	v_sub_f16_e32 v96, v97, v101
	v_pack_b32_f16 v11, v13, v19
	v_pack_b32_f16 v1, v1, v34
	;; [unrolled: 1-line block ×5, first 2 shown]
	ds_store_b32 v80, v6
	ds_store_b32 v80, v8 offset:2160
	ds_store_b32 v80, v10 offset:4320
	;; [unrolled: 1-line block ×5, first 2 shown]
	v_pack_b32_f16 v6, v7, v44
	v_pack_b32_f16 v2, v2, v5
	;; [unrolled: 1-line block ×4, first 2 shown]
	ds_store_b32 v79, v1
	ds_store_b32 v79, v3 offset:2160
	ds_store_b32 v79, v6 offset:4320
	;; [unrolled: 1-line block ×5, first 2 shown]
	global_wb scope:SCOPE_SE
	s_wait_dscnt 0x0
	s_barrier_signal -1
	s_barrier_wait -1
	global_inv scope:SCOPE_SE
	ds_load_b32 v14, v51
	v_sub_nc_u32_e32 v2, 0, v25
                                        ; implicit-def: $vgpr13
                                        ; implicit-def: $vgpr12
                                        ; implicit-def: $vgpr11
                                        ; implicit-def: $vgpr0_vgpr1
	s_wait_dscnt 0x0
	v_lshrrev_b32_e32 v15, 16, v14
	v_cmpx_ne_u32_e32 0, v24
	s_wait_alu 0xfffe
	s_xor_b32 s1, exec_lo, s1
	s_cbranch_execz .LBB0_15
; %bb.14:
	v_mov_b32_e32 v25, v20
	s_delay_alu instid0(VALU_DEP_1) | instskip(NEXT) | instid1(VALU_DEP_1)
	v_lshlrev_b64_e32 v[0:1], 2, v[24:25]
	v_add_co_u32 v0, s0, s8, v0
	s_wait_alu 0xf1ff
	s_delay_alu instid0(VALU_DEP_2)
	v_add_co_ci_u32_e64 v1, s0, s9, v1, s0
	global_load_b32 v0, v[0:1], off offset:12948
	ds_load_b32 v1, v2 offset:12960
	s_wait_dscnt 0x0
	v_sub_f16_e32 v4, v14, v1
	v_lshrrev_b32_e32 v3, 16, v1
	v_add_f16_e32 v1, v1, v14
                                        ; implicit-def: $vgpr14
	s_delay_alu instid0(VALU_DEP_3) | instskip(NEXT) | instid1(VALU_DEP_3)
	v_mul_f16_e32 v4, 0.5, v4
	v_add_f16_e32 v5, v3, v15
	v_sub_f16_e32 v3, v15, v3
                                        ; implicit-def: $vgpr15
	s_delay_alu instid0(VALU_DEP_2) | instskip(NEXT) | instid1(VALU_DEP_2)
	v_mul_f16_e32 v5, 0.5, v5
	v_mul_f16_e32 v3, 0.5, v3
	s_wait_loadcnt 0x0
	v_lshrrev_b32_e32 v6, 16, v0
	s_delay_alu instid0(VALU_DEP_1) | instskip(NEXT) | instid1(VALU_DEP_3)
	v_mul_f16_e32 v7, v6, v4
	v_fma_f16 v8, v5, v6, v3
	v_fma_f16 v3, v5, v6, -v3
	s_delay_alu instid0(VALU_DEP_3) | instskip(SKIP_1) | instid1(VALU_DEP_4)
	v_fma_f16 v9, 0.5, v1, v7
	v_fma_f16 v1, v1, 0.5, -v7
	v_fma_f16 v11, -v0, v4, v8
	s_delay_alu instid0(VALU_DEP_4) | instskip(NEXT) | instid1(VALU_DEP_4)
	v_fma_f16 v13, -v0, v4, v3
	v_fmac_f16_e32 v9, v0, v5
	s_delay_alu instid0(VALU_DEP_4)
	v_fma_f16 v12, -v0, v5, v1
	v_dual_mov_b32 v0, v24 :: v_dual_mov_b32 v1, v25
	ds_store_b16 v51, v9
.LBB0_15:
	s_wait_alu 0xfffe
	s_or_saveexec_b32 s0, s1
	v_sub_nc_u32_e32 v10, 0, v72
	v_sub_nc_u32_e32 v9, 0, v73
	;; [unrolled: 1-line block ×8, first 2 shown]
	s_wait_alu 0xfffe
	s_xor_b32 exec_lo, exec_lo, s0
	s_cbranch_execz .LBB0_17
; %bb.16:
	v_mov_b32_e32 v11, 0
	v_add_f16_e32 v16, v15, v14
	v_sub_f16_e32 v12, v14, v15
	v_mov_b32_e32 v13, 0
	ds_load_u16 v0, v11 offset:6482
	s_wait_dscnt 0x0
	v_xor_b32_e32 v14, 0x8000, v0
	v_mov_b32_e32 v0, 0
	v_mov_b32_e32 v1, 0
	ds_store_b16 v51, v16
	ds_store_b16 v11, v14 offset:6482
.LBB0_17:
	s_or_b32 exec_lo, exec_lo, s0
	v_dual_mov_b32 v29, 0 :: v_dual_add_nc_u32 v10, v59, v10
	v_perm_b32 v13, v13, v12, 0x5040100
	ds_store_b16 v51, v11 offset:2
	v_lshlrev_b64_e32 v[0:1], 2, v[0:1]
	v_lshlrev_b64_e32 v[14:15], 2, v[28:29]
	v_mov_b32_e32 v41, v29
	ds_store_b32 v2, v13 offset:12960
	v_add_nc_u32_e32 v7, v56, v7
	v_add_nc_u32_e32 v6, v54, v6
	;; [unrolled: 1-line block ×3, first 2 shown]
	v_add_co_u32 v14, s0, s8, v14
	s_wait_alu 0xf1ff
	v_add_co_ci_u32_e64 v15, s0, s9, v15, s0
	v_add_nc_u32_e32 v4, v53, v4
	v_dual_mov_b32 v34, v29 :: v_dual_add_nc_u32 v3, v52, v3
	global_load_b32 v16, v[14:15], off offset:12948
	v_lshlrev_b64_e32 v[14:15], 2, v[40:41]
	v_mov_b32_e32 v40, v29
	s_delay_alu instid0(VALU_DEP_2) | instskip(SKIP_1) | instid1(VALU_DEP_3)
	v_add_co_u32 v14, s0, s8, v14
	s_wait_alu 0xf1ff
	v_add_co_ci_u32_e64 v15, s0, s9, v15, s0
	global_load_b32 v17, v[14:15], off offset:12948
	v_lshlrev_b64_e32 v[14:15], 2, v[39:40]
	v_mov_b32_e32 v39, v29
	s_delay_alu instid0(VALU_DEP_2) | instskip(SKIP_1) | instid1(VALU_DEP_3)
	v_add_co_u32 v14, s0, s8, v14
	s_wait_alu 0xf1ff
	v_add_co_ci_u32_e64 v15, s0, s9, v15, s0
	;; [unrolled: 7-line block ×4, first 2 shown]
	s_delay_alu instid0(VALU_DEP_3)
	v_lshlrev_b64_e32 v[11:12], 2, v[36:37]
	v_mov_b32_e32 v36, v29
	global_load_b32 v15, v[14:15], off offset:12948
	ds_load_b32 v20, v61
	ds_load_b32 v21, v2 offset:12528
	v_add_co_u32 v11, s0, s8, v11
	s_wait_alu 0xf1ff
	v_add_co_ci_u32_e64 v12, s0, s9, v12, s0
	global_load_b32 v22, v[11:12], off offset:12948
	v_lshlrev_b64_e32 v[11:12], 2, v[33:34]
	v_mov_b32_e32 v33, v29
	v_lshlrev_b64_e32 v[13:14], 2, v[35:36]
	s_delay_alu instid0(VALU_DEP_3) | instskip(SKIP_1) | instid1(VALU_DEP_4)
	v_add_co_u32 v11, s0, s8, v11
	s_wait_alu 0xf1ff
	v_add_co_ci_u32_e64 v12, s0, s9, v12, s0
	s_wait_dscnt 0x0
	v_pk_add_f16 v23, v20, v21 neg_lo:[0,1] neg_hi:[0,1]
	v_pk_add_f16 v20, v20, v21
	v_add_co_u32 v13, s0, s8, v13
	s_wait_alu 0xf1ff
	v_add_co_ci_u32_e64 v14, s0, s9, v14, s0
	s_delay_alu instid0(VALU_DEP_3)
	v_bfi_b32 v21, 0xffff, v23, v20
	v_bfi_b32 v20, 0xffff, v20, v23
	s_clause 0x1
	global_load_b32 v11, v[11:12], off offset:12948
	global_load_b32 v12, v[13:14], off offset:12948
	v_pk_mul_f16 v21, v21, 0.5 op_sel_hi:[1,0]
	v_pk_mul_f16 v20, v20, 0.5 op_sel_hi:[1,0]
	s_wait_loadcnt 0x7
	s_delay_alu instid0(VALU_DEP_1) | instskip(SKIP_3) | instid1(VALU_DEP_3)
	v_pk_fma_f16 v13, v16, v21, v20 op_sel:[1,0,0]
	v_pk_mul_f16 v14, v16, v21 op_sel_hi:[0,1]
	v_pk_fma_f16 v23, v16, v21, v20 op_sel:[1,0,0] neg_lo:[1,0,0] neg_hi:[1,0,0]
	v_pk_fma_f16 v16, v16, v21, v20 op_sel:[1,0,0] neg_lo:[0,0,1] neg_hi:[0,0,1]
	v_pk_add_f16 v20, v13, v14 op_sel:[0,1] op_sel_hi:[1,0]
	v_pk_add_f16 v13, v13, v14 op_sel:[0,1] op_sel_hi:[1,0] neg_lo:[0,1] neg_hi:[0,1]
	s_delay_alu instid0(VALU_DEP_4) | instskip(NEXT) | instid1(VALU_DEP_4)
	v_pk_add_f16 v21, v23, v14 op_sel:[0,1] op_sel_hi:[1,0] neg_lo:[0,1] neg_hi:[0,1]
	v_pk_add_f16 v14, v16, v14 op_sel:[0,1] op_sel_hi:[1,0] neg_lo:[0,1] neg_hi:[0,1]
	s_delay_alu instid0(VALU_DEP_3) | instskip(NEXT) | instid1(VALU_DEP_2)
	v_bfi_b32 v13, 0xffff, v20, v13
	v_bfi_b32 v14, 0xffff, v21, v14
	ds_store_b32 v61, v13
	ds_store_b32 v2, v14 offset:12528
	ds_load_b32 v13, v10
	ds_load_b32 v14, v2 offset:12096
	s_wait_dscnt 0x0
	v_pk_add_f16 v16, v13, v14 neg_lo:[0,1] neg_hi:[0,1]
	v_pk_add_f16 v13, v13, v14
	s_delay_alu instid0(VALU_DEP_1) | instskip(SKIP_1) | instid1(VALU_DEP_2)
	v_bfi_b32 v14, 0xffff, v16, v13
	v_bfi_b32 v13, 0xffff, v13, v16
	v_pk_mul_f16 v14, v14, 0.5 op_sel_hi:[1,0]
	s_delay_alu instid0(VALU_DEP_2) | instskip(SKIP_1) | instid1(VALU_DEP_2)
	v_pk_mul_f16 v13, v13, 0.5 op_sel_hi:[1,0]
	s_wait_loadcnt 0x6
	v_pk_mul_f16 v20, v17, v14 op_sel_hi:[0,1]
	s_delay_alu instid0(VALU_DEP_2) | instskip(SKIP_2) | instid1(VALU_DEP_3)
	v_pk_fma_f16 v16, v17, v14, v13 op_sel:[1,0,0]
	v_pk_fma_f16 v21, v17, v14, v13 op_sel:[1,0,0] neg_lo:[1,0,0] neg_hi:[1,0,0]
	v_pk_fma_f16 v13, v17, v14, v13 op_sel:[1,0,0] neg_lo:[0,0,1] neg_hi:[0,0,1]
	v_pk_add_f16 v14, v16, v20 op_sel:[0,1] op_sel_hi:[1,0]
	v_pk_add_f16 v16, v16, v20 op_sel:[0,1] op_sel_hi:[1,0] neg_lo:[0,1] neg_hi:[0,1]
	s_delay_alu instid0(VALU_DEP_4) | instskip(NEXT) | instid1(VALU_DEP_4)
	v_pk_add_f16 v17, v21, v20 op_sel:[0,1] op_sel_hi:[1,0] neg_lo:[0,1] neg_hi:[0,1]
	v_pk_add_f16 v13, v13, v20 op_sel:[0,1] op_sel_hi:[1,0] neg_lo:[0,1] neg_hi:[0,1]
	s_delay_alu instid0(VALU_DEP_3) | instskip(SKIP_1) | instid1(VALU_DEP_3)
	v_bfi_b32 v14, 0xffff, v14, v16
	v_add_nc_u32_e32 v16, v58, v9
	v_bfi_b32 v13, 0xffff, v17, v13
	ds_store_b32 v10, v14
	ds_store_b32 v2, v13 offset:12096
	ds_load_b32 v9, v16
	ds_load_b32 v10, v2 offset:11664
	s_wait_dscnt 0x0
	v_pk_add_f16 v13, v9, v10 neg_lo:[0,1] neg_hi:[0,1]
	v_pk_add_f16 v9, v9, v10
	s_delay_alu instid0(VALU_DEP_1) | instskip(SKIP_1) | instid1(VALU_DEP_2)
	v_bfi_b32 v10, 0xffff, v13, v9
	v_bfi_b32 v9, 0xffff, v9, v13
	v_pk_mul_f16 v10, v10, 0.5 op_sel_hi:[1,0]
	s_delay_alu instid0(VALU_DEP_2) | instskip(SKIP_1) | instid1(VALU_DEP_2)
	v_pk_mul_f16 v9, v9, 0.5 op_sel_hi:[1,0]
	s_wait_loadcnt 0x5
	v_pk_mul_f16 v14, v18, v10 op_sel_hi:[0,1]
	s_delay_alu instid0(VALU_DEP_2) | instskip(SKIP_2) | instid1(VALU_DEP_3)
	v_pk_fma_f16 v13, v18, v10, v9 op_sel:[1,0,0]
	v_pk_fma_f16 v17, v18, v10, v9 op_sel:[1,0,0] neg_lo:[1,0,0] neg_hi:[1,0,0]
	v_pk_fma_f16 v9, v18, v10, v9 op_sel:[1,0,0] neg_lo:[0,0,1] neg_hi:[0,0,1]
	v_pk_add_f16 v10, v13, v14 op_sel:[0,1] op_sel_hi:[1,0]
	v_pk_add_f16 v13, v13, v14 op_sel:[0,1] op_sel_hi:[1,0] neg_lo:[0,1] neg_hi:[0,1]
	s_delay_alu instid0(VALU_DEP_4) | instskip(NEXT) | instid1(VALU_DEP_4)
	v_pk_add_f16 v17, v17, v14 op_sel:[0,1] op_sel_hi:[1,0] neg_lo:[0,1] neg_hi:[0,1]
	v_pk_add_f16 v9, v9, v14 op_sel:[0,1] op_sel_hi:[1,0] neg_lo:[0,1] neg_hi:[0,1]
	v_add_nc_u32_e32 v14, v57, v8
	s_delay_alu instid0(VALU_DEP_4) | instskip(NEXT) | instid1(VALU_DEP_3)
	v_bfi_b32 v10, 0xffff, v10, v13
	v_bfi_b32 v13, 0xffff, v17, v9
	v_lshlrev_b64_e32 v[8:9], 2, v[32:33]
	ds_store_b32 v16, v10
	ds_store_b32 v2, v13 offset:11664
	ds_load_b32 v10, v14
	ds_load_b32 v13, v2 offset:11232
	v_add_co_u32 v8, s0, s8, v8
	s_wait_alu 0xf1ff
	v_add_co_ci_u32_e64 v9, s0, s9, v9, s0
	s_add_nc_u64 s[0:1], s[8:9], 0x3294
	s_wait_alu 0xfffe
	v_add_co_u32 v0, s0, s0, v0
	global_load_b32 v8, v[8:9], off offset:12948
	s_wait_alu 0xf1ff
	v_add_co_ci_u32_e64 v1, s0, s1, v1, s0
	s_wait_dscnt 0x0
	v_pk_add_f16 v9, v10, v13 neg_lo:[0,1] neg_hi:[0,1]
	v_pk_add_f16 v10, v10, v13
	s_delay_alu instid0(VALU_DEP_1) | instskip(SKIP_1) | instid1(VALU_DEP_2)
	v_bfi_b32 v13, 0xffff, v9, v10
	v_bfi_b32 v9, 0xffff, v10, v9
	v_pk_mul_f16 v10, v13, 0.5 op_sel_hi:[1,0]
	s_delay_alu instid0(VALU_DEP_2) | instskip(SKIP_1) | instid1(VALU_DEP_2)
	v_pk_mul_f16 v9, v9, 0.5 op_sel_hi:[1,0]
	s_wait_loadcnt 0x5
	v_pk_mul_f16 v16, v19, v10 op_sel_hi:[0,1]
	s_delay_alu instid0(VALU_DEP_2) | instskip(SKIP_2) | instid1(VALU_DEP_3)
	v_pk_fma_f16 v13, v19, v10, v9 op_sel:[1,0,0]
	v_pk_fma_f16 v17, v19, v10, v9 op_sel:[1,0,0] neg_lo:[1,0,0] neg_hi:[1,0,0]
	v_pk_fma_f16 v9, v19, v10, v9 op_sel:[1,0,0] neg_lo:[0,0,1] neg_hi:[0,0,1]
	v_pk_add_f16 v10, v13, v16 op_sel:[0,1] op_sel_hi:[1,0]
	v_pk_add_f16 v13, v13, v16 op_sel:[0,1] op_sel_hi:[1,0] neg_lo:[0,1] neg_hi:[0,1]
	s_delay_alu instid0(VALU_DEP_4) | instskip(NEXT) | instid1(VALU_DEP_4)
	v_pk_add_f16 v17, v17, v16 op_sel:[0,1] op_sel_hi:[1,0] neg_lo:[0,1] neg_hi:[0,1]
	v_pk_add_f16 v9, v9, v16 op_sel:[0,1] op_sel_hi:[1,0] neg_lo:[0,1] neg_hi:[0,1]
	s_delay_alu instid0(VALU_DEP_3) | instskip(NEXT) | instid1(VALU_DEP_2)
	v_bfi_b32 v10, 0xffff, v10, v13
	v_bfi_b32 v9, 0xffff, v17, v9
	ds_store_b32 v14, v10
	ds_store_b32 v2, v9 offset:11232
	ds_load_b32 v9, v7
	ds_load_b32 v10, v2 offset:10800
	global_load_b32 v13, v[0:1], off offset:4320
	s_wait_dscnt 0x0
	v_pk_add_f16 v14, v9, v10 neg_lo:[0,1] neg_hi:[0,1]
	v_pk_add_f16 v9, v9, v10
	s_delay_alu instid0(VALU_DEP_1) | instskip(SKIP_1) | instid1(VALU_DEP_2)
	v_bfi_b32 v10, 0xffff, v14, v9
	v_bfi_b32 v9, 0xffff, v9, v14
	v_pk_mul_f16 v10, v10, 0.5 op_sel_hi:[1,0]
	s_delay_alu instid0(VALU_DEP_2) | instskip(SKIP_1) | instid1(VALU_DEP_2)
	v_pk_mul_f16 v9, v9, 0.5 op_sel_hi:[1,0]
	s_wait_loadcnt 0x5
	v_pk_mul_f16 v16, v15, v10 op_sel_hi:[0,1]
	s_delay_alu instid0(VALU_DEP_2) | instskip(SKIP_2) | instid1(VALU_DEP_3)
	v_pk_fma_f16 v14, v15, v10, v9 op_sel:[1,0,0]
	v_pk_fma_f16 v17, v15, v10, v9 op_sel:[1,0,0] neg_lo:[1,0,0] neg_hi:[1,0,0]
	v_pk_fma_f16 v9, v15, v10, v9 op_sel:[1,0,0] neg_lo:[0,0,1] neg_hi:[0,0,1]
	v_pk_add_f16 v10, v14, v16 op_sel:[0,1] op_sel_hi:[1,0]
	v_pk_add_f16 v14, v14, v16 op_sel:[0,1] op_sel_hi:[1,0] neg_lo:[0,1] neg_hi:[0,1]
	s_delay_alu instid0(VALU_DEP_4) | instskip(NEXT) | instid1(VALU_DEP_4)
	v_pk_add_f16 v15, v17, v16 op_sel:[0,1] op_sel_hi:[1,0] neg_lo:[0,1] neg_hi:[0,1]
	v_pk_add_f16 v9, v9, v16 op_sel:[0,1] op_sel_hi:[1,0] neg_lo:[0,1] neg_hi:[0,1]
	s_delay_alu instid0(VALU_DEP_3) | instskip(NEXT) | instid1(VALU_DEP_2)
	v_bfi_b32 v10, 0xffff, v10, v14
	v_bfi_b32 v9, 0xffff, v15, v9
	ds_store_b32 v7, v10
	ds_store_b32 v2, v9 offset:10800
	ds_load_b32 v7, v6
	ds_load_b32 v9, v2 offset:10368
	global_load_b32 v10, v[0:1], off offset:4752
	;; [unrolled: 28-line block ×5, first 2 shown]
	s_wait_dscnt 0x0
	v_pk_add_f16 v1, v4, v5 neg_lo:[0,1] neg_hi:[0,1]
	v_pk_add_f16 v4, v4, v5
	s_delay_alu instid0(VALU_DEP_1) | instskip(SKIP_1) | instid1(VALU_DEP_2)
	v_bfi_b32 v5, 0xffff, v1, v4
	v_bfi_b32 v1, 0xffff, v4, v1
	v_pk_mul_f16 v4, v5, 0.5 op_sel_hi:[1,0]
	s_delay_alu instid0(VALU_DEP_2) | instskip(SKIP_1) | instid1(VALU_DEP_1)
	v_pk_mul_f16 v1, v1, 0.5 op_sel_hi:[1,0]
	s_wait_loadcnt 0x5
	v_pk_fma_f16 v5, v8, v4, v1 op_sel:[1,0,0]
	v_pk_mul_f16 v6, v8, v4 op_sel_hi:[0,1]
	v_pk_fma_f16 v11, v8, v4, v1 op_sel:[1,0,0] neg_lo:[1,0,0] neg_hi:[1,0,0]
	v_pk_fma_f16 v1, v8, v4, v1 op_sel:[1,0,0] neg_lo:[0,0,1] neg_hi:[0,0,1]
	s_delay_alu instid0(VALU_DEP_3) | instskip(SKIP_1) | instid1(VALU_DEP_4)
	v_pk_add_f16 v4, v5, v6 op_sel:[0,1] op_sel_hi:[1,0]
	v_pk_add_f16 v5, v5, v6 op_sel:[0,1] op_sel_hi:[1,0] neg_lo:[0,1] neg_hi:[0,1]
	v_pk_add_f16 v8, v11, v6 op_sel:[0,1] op_sel_hi:[1,0] neg_lo:[0,1] neg_hi:[0,1]
	s_delay_alu instid0(VALU_DEP_4) | instskip(NEXT) | instid1(VALU_DEP_3)
	v_pk_add_f16 v1, v1, v6 op_sel:[0,1] op_sel_hi:[1,0] neg_lo:[0,1] neg_hi:[0,1]
	v_bfi_b32 v4, 0xffff, v4, v5
	s_delay_alu instid0(VALU_DEP_2)
	v_bfi_b32 v1, 0xffff, v8, v1
	ds_store_b32 v3, v4
	ds_store_b32 v2, v1 offset:9072
	ds_load_b32 v1, v51 offset:4320
	ds_load_b32 v3, v2 offset:8640
	s_wait_dscnt 0x0
	v_pk_add_f16 v4, v1, v3 neg_lo:[0,1] neg_hi:[0,1]
	v_pk_add_f16 v1, v1, v3
	s_delay_alu instid0(VALU_DEP_1) | instskip(SKIP_1) | instid1(VALU_DEP_2)
	v_bfi_b32 v3, 0xffff, v4, v1
	v_bfi_b32 v1, 0xffff, v1, v4
	v_pk_mul_f16 v3, v3, 0.5 op_sel_hi:[1,0]
	s_delay_alu instid0(VALU_DEP_2) | instskip(SKIP_1) | instid1(VALU_DEP_2)
	v_pk_mul_f16 v1, v1, 0.5 op_sel_hi:[1,0]
	s_wait_loadcnt 0x4
	v_pk_mul_f16 v5, v13, v3 op_sel_hi:[0,1]
	s_delay_alu instid0(VALU_DEP_2) | instskip(SKIP_2) | instid1(VALU_DEP_3)
	v_pk_fma_f16 v4, v13, v3, v1 op_sel:[1,0,0]
	v_pk_fma_f16 v6, v13, v3, v1 op_sel:[1,0,0] neg_lo:[1,0,0] neg_hi:[1,0,0]
	v_pk_fma_f16 v1, v13, v3, v1 op_sel:[1,0,0] neg_lo:[0,0,1] neg_hi:[0,0,1]
	v_pk_add_f16 v3, v4, v5 op_sel:[0,1] op_sel_hi:[1,0]
	v_pk_add_f16 v4, v4, v5 op_sel:[0,1] op_sel_hi:[1,0] neg_lo:[0,1] neg_hi:[0,1]
	s_delay_alu instid0(VALU_DEP_4) | instskip(NEXT) | instid1(VALU_DEP_4)
	v_pk_add_f16 v6, v6, v5 op_sel:[0,1] op_sel_hi:[1,0] neg_lo:[0,1] neg_hi:[0,1]
	v_pk_add_f16 v1, v1, v5 op_sel:[0,1] op_sel_hi:[1,0] neg_lo:[0,1] neg_hi:[0,1]
	s_delay_alu instid0(VALU_DEP_3) | instskip(NEXT) | instid1(VALU_DEP_2)
	v_bfi_b32 v3, 0xffff, v3, v4
	v_bfi_b32 v1, 0xffff, v6, v1
	ds_store_b32 v51, v3 offset:4320
	ds_store_b32 v2, v1 offset:8640
	ds_load_b32 v1, v51 offset:4752
	ds_load_b32 v3, v2 offset:8208
	s_wait_dscnt 0x0
	v_pk_add_f16 v4, v1, v3 neg_lo:[0,1] neg_hi:[0,1]
	v_pk_add_f16 v1, v1, v3
	s_delay_alu instid0(VALU_DEP_1) | instskip(SKIP_1) | instid1(VALU_DEP_2)
	v_bfi_b32 v3, 0xffff, v4, v1
	v_bfi_b32 v1, 0xffff, v1, v4
	v_pk_mul_f16 v3, v3, 0.5 op_sel_hi:[1,0]
	s_delay_alu instid0(VALU_DEP_2) | instskip(SKIP_1) | instid1(VALU_DEP_2)
	v_pk_mul_f16 v1, v1, 0.5 op_sel_hi:[1,0]
	s_wait_loadcnt 0x3
	v_pk_mul_f16 v5, v10, v3 op_sel_hi:[0,1]
	s_delay_alu instid0(VALU_DEP_2) | instskip(SKIP_2) | instid1(VALU_DEP_3)
	v_pk_fma_f16 v4, v10, v3, v1 op_sel:[1,0,0]
	v_pk_fma_f16 v6, v10, v3, v1 op_sel:[1,0,0] neg_lo:[1,0,0] neg_hi:[1,0,0]
	v_pk_fma_f16 v1, v10, v3, v1 op_sel:[1,0,0] neg_lo:[0,0,1] neg_hi:[0,0,1]
	v_pk_add_f16 v3, v4, v5 op_sel:[0,1] op_sel_hi:[1,0]
	v_pk_add_f16 v4, v4, v5 op_sel:[0,1] op_sel_hi:[1,0] neg_lo:[0,1] neg_hi:[0,1]
	s_delay_alu instid0(VALU_DEP_4) | instskip(NEXT) | instid1(VALU_DEP_4)
	v_pk_add_f16 v6, v6, v5 op_sel:[0,1] op_sel_hi:[1,0] neg_lo:[0,1] neg_hi:[0,1]
	v_pk_add_f16 v1, v1, v5 op_sel:[0,1] op_sel_hi:[1,0] neg_lo:[0,1] neg_hi:[0,1]
	s_delay_alu instid0(VALU_DEP_3) | instskip(NEXT) | instid1(VALU_DEP_2)
	v_bfi_b32 v3, 0xffff, v3, v4
	v_bfi_b32 v1, 0xffff, v6, v1
	ds_store_b32 v51, v3 offset:4752
	;; [unrolled: 27-line block ×5, first 2 shown]
	ds_store_b32 v2, v0 offset:6912
	global_wb scope:SCOPE_SE
	s_wait_dscnt 0x0
	s_barrier_signal -1
	s_barrier_wait -1
	global_inv scope:SCOPE_SE
	s_and_saveexec_b32 s0, vcc_lo
	s_cbranch_execz .LBB0_20
; %bb.18:
	v_mul_lo_u32 v2, s3, v30
	v_mul_lo_u32 v3, s2, v31
	v_mad_co_u64_u32 v[0:1], null, s2, v30, 0
	v_dual_mov_b32 v25, v29 :: v_dual_add_nc_u32 v28, 0x6c, v24
	v_lshl_add_u32 v32, v24, 2, 0
	s_delay_alu instid0(VALU_DEP_2) | instskip(NEXT) | instid1(VALU_DEP_4)
	v_lshlrev_b64_e32 v[6:7], 2, v[24:25]
	v_add3_u32 v1, v1, v3, v2
	v_lshlrev_b64_e32 v[2:3], 2, v[26:27]
	v_lshlrev_b64_e32 v[8:9], 2, v[28:29]
	v_add_nc_u32_e32 v28, 0xd8, v24
	v_add_nc_u32_e32 v12, 0x200, v32
	v_lshlrev_b64_e32 v[0:1], 2, v[0:1]
	v_add_nc_u32_e32 v16, 0x600, v32
	ds_load_2addr_b32 v[4:5], v32 offset1:108
	v_lshlrev_b64_e32 v[10:11], 2, v[28:29]
	v_add_nc_u32_e32 v28, 0x144, v24
	v_add_nc_u32_e32 v22, 0x800, v32
	v_add_co_u32 v0, vcc_lo, s6, v0
	s_wait_alu 0xfffd
	v_add_co_ci_u32_e32 v1, vcc_lo, s7, v1, vcc_lo
	ds_load_2addr_b32 v[16:17], v16 offset0:48 offset1:156
	v_add_co_u32 v0, vcc_lo, v0, v2
	s_wait_alu 0xfffd
	v_add_co_ci_u32_e32 v1, vcc_lo, v1, v3, vcc_lo
	ds_load_2addr_b32 v[22:23], v22 offset0:136 offset1:244
	v_add_co_u32 v2, vcc_lo, v0, v6
	s_wait_alu 0xfffd
	v_add_co_ci_u32_e32 v3, vcc_lo, v1, v7, vcc_lo
	v_add_co_u32 v6, vcc_lo, v0, v8
	s_wait_alu 0xfffd
	v_add_co_ci_u32_e32 v7, vcc_lo, v1, v9, vcc_lo
	ds_load_2addr_b32 v[8:9], v12 offset0:88 offset1:196
	v_lshlrev_b64_e32 v[12:13], 2, v[28:29]
	v_add_nc_u32_e32 v28, 0x1b0, v24
	v_add_co_u32 v10, vcc_lo, v0, v10
	s_wait_alu 0xfffd
	v_add_co_ci_u32_e32 v11, vcc_lo, v1, v11, vcc_lo
	s_delay_alu instid0(VALU_DEP_3) | instskip(SKIP_4) | instid1(VALU_DEP_3)
	v_lshlrev_b64_e32 v[14:15], 2, v[28:29]
	v_add_nc_u32_e32 v28, 0x21c, v24
	v_add_co_u32 v12, vcc_lo, v0, v12
	s_wait_alu 0xfffd
	v_add_co_ci_u32_e32 v13, vcc_lo, v1, v13, vcc_lo
	v_lshlrev_b64_e32 v[18:19], 2, v[28:29]
	v_add_nc_u32_e32 v28, 0x288, v24
	v_add_co_u32 v14, vcc_lo, v0, v14
	s_wait_alu 0xfffd
	v_add_co_ci_u32_e32 v15, vcc_lo, v1, v15, vcc_lo
	s_delay_alu instid0(VALU_DEP_3) | instskip(SKIP_4) | instid1(VALU_DEP_3)
	v_lshlrev_b64_e32 v[20:21], 2, v[28:29]
	v_add_nc_u32_e32 v28, 0x2f4, v24
	v_add_co_u32 v18, vcc_lo, v0, v18
	s_wait_alu 0xfffd
	v_add_co_ci_u32_e32 v19, vcc_lo, v1, v19, vcc_lo
	v_lshlrev_b64_e32 v[25:26], 2, v[28:29]
	v_add_nc_u32_e32 v28, 0x360, v24
	v_add_co_u32 v20, vcc_lo, v0, v20
	s_wait_alu 0xfffd
	v_add_co_ci_u32_e32 v21, vcc_lo, v1, v21, vcc_lo
	s_delay_alu instid0(VALU_DEP_3)
	v_lshlrev_b64_e32 v[30:31], 2, v[28:29]
	v_add_nc_u32_e32 v28, 0x3cc, v24
	v_add_co_u32 v25, vcc_lo, v0, v25
	s_wait_alu 0xfffd
	v_add_co_ci_u32_e32 v26, vcc_lo, v1, v26, vcc_lo
	s_wait_dscnt 0x3
	s_clause 0x1
	global_store_b32 v[2:3], v4, off
	global_store_b32 v[6:7], v5, off
	s_wait_dscnt 0x0
	s_clause 0x5
	global_store_b32 v[10:11], v8, off
	global_store_b32 v[12:13], v9, off
	;; [unrolled: 1-line block ×6, first 2 shown]
	v_lshlrev_b64_e32 v[4:5], 2, v[28:29]
	v_add_nc_u32_e32 v28, 0x438, v24
	v_add_nc_u32_e32 v27, 0xc00, v32
	v_add_co_u32 v6, vcc_lo, v0, v30
	v_add_nc_u32_e32 v10, 0x1000, v32
	s_delay_alu instid0(VALU_DEP_4)
	v_lshlrev_b64_e32 v[8:9], 2, v[28:29]
	v_add_nc_u32_e32 v28, 0x4a4, v24
	s_wait_alu 0xfffd
	v_add_co_ci_u32_e32 v7, vcc_lo, v1, v31, vcc_lo
	v_add_nc_u32_e32 v16, 0x1400, v32
	ds_load_2addr_b32 v[2:3], v27 offset0:96 offset1:204
	v_lshlrev_b64_e32 v[12:13], 2, v[28:29]
	v_add_nc_u32_e32 v28, 0x510, v24
	v_add_co_u32 v4, vcc_lo, v0, v4
	v_add_nc_u32_e32 v22, 0x1600, v32
	s_wait_alu 0xfffd
	v_add_co_ci_u32_e32 v5, vcc_lo, v1, v5, vcc_lo
	v_lshlrev_b64_e32 v[14:15], 2, v[28:29]
	v_add_nc_u32_e32 v28, 0x57c, v24
	ds_load_2addr_b32 v[10:11], v10 offset0:56 offset1:164
	v_add_co_u32 v8, vcc_lo, v0, v8
	ds_load_2addr_b32 v[16:17], v16 offset0:16 offset1:124
	v_lshlrev_b64_e32 v[18:19], 2, v[28:29]
	v_add_nc_u32_e32 v28, 0x5e8, v24
	s_wait_alu 0xfffd
	v_add_co_ci_u32_e32 v9, vcc_lo, v1, v9, vcc_lo
	v_add_co_u32 v12, vcc_lo, v0, v12
	s_delay_alu instid0(VALU_DEP_3)
	v_lshlrev_b64_e32 v[20:21], 2, v[28:29]
	v_add_nc_u32_e32 v28, 0x654, v24
	ds_load_2addr_b32 v[22:23], v22 offset0:104 offset1:212
	s_wait_alu 0xfffd
	v_add_co_ci_u32_e32 v13, vcc_lo, v1, v13, vcc_lo
	v_add_co_u32 v14, vcc_lo, v0, v14
	v_lshlrev_b64_e32 v[25:26], 2, v[28:29]
	v_add_nc_u32_e32 v28, 0x6c0, v24
	s_wait_alu 0xfffd
	v_add_co_ci_u32_e32 v15, vcc_lo, v1, v15, vcc_lo
	v_add_co_u32 v18, vcc_lo, v0, v18
	s_wait_alu 0xfffd
	v_add_co_ci_u32_e32 v19, vcc_lo, v1, v19, vcc_lo
	v_add_co_u32 v20, vcc_lo, v0, v20
	v_lshlrev_b64_e32 v[30:31], 2, v[28:29]
	v_add_nc_u32_e32 v28, 0x72c, v24
	s_wait_alu 0xfffd
	v_add_co_ci_u32_e32 v21, vcc_lo, v1, v21, vcc_lo
	v_add_co_u32 v25, vcc_lo, v0, v25
	s_wait_alu 0xfffd
	v_add_co_ci_u32_e32 v26, vcc_lo, v1, v26, vcc_lo
	s_wait_dscnt 0x3
	s_clause 0x1
	global_store_b32 v[6:7], v2, off
	global_store_b32 v[4:5], v3, off
	s_wait_dscnt 0x2
	s_clause 0x1
	global_store_b32 v[8:9], v10, off
	global_store_b32 v[12:13], v11, off
	;; [unrolled: 4-line block ×4, first 2 shown]
	v_lshlrev_b64_e32 v[4:5], 2, v[28:29]
	v_add_nc_u32_e32 v28, 0x798, v24
	v_add_nc_u32_e32 v27, 0x1a00, v32
	v_add_co_u32 v6, vcc_lo, v0, v30
	v_add_nc_u32_e32 v10, 0x1e00, v32
	s_delay_alu instid0(VALU_DEP_4)
	v_lshlrev_b64_e32 v[8:9], 2, v[28:29]
	v_add_nc_u32_e32 v28, 0x804, v24
	s_wait_alu 0xfffd
	v_add_co_ci_u32_e32 v7, vcc_lo, v1, v31, vcc_lo
	v_add_nc_u32_e32 v16, 0x2000, v32
	ds_load_2addr_b32 v[2:3], v27 offset0:64 offset1:172
	v_lshlrev_b64_e32 v[12:13], 2, v[28:29]
	v_add_nc_u32_e32 v28, 0x870, v24
	v_add_co_u32 v4, vcc_lo, v0, v4
	v_add_nc_u32_e32 v22, 0x2400, v32
	s_wait_alu 0xfffd
	v_add_co_ci_u32_e32 v5, vcc_lo, v1, v5, vcc_lo
	v_lshlrev_b64_e32 v[14:15], 2, v[28:29]
	v_add_nc_u32_e32 v28, 0x8dc, v24
	ds_load_2addr_b32 v[10:11], v10 offset0:24 offset1:132
	v_add_co_u32 v8, vcc_lo, v0, v8
	ds_load_2addr_b32 v[16:17], v16 offset0:112 offset1:220
	v_lshlrev_b64_e32 v[18:19], 2, v[28:29]
	v_add_nc_u32_e32 v28, 0x948, v24
	s_wait_alu 0xfffd
	v_add_co_ci_u32_e32 v9, vcc_lo, v1, v9, vcc_lo
	v_add_co_u32 v12, vcc_lo, v0, v12
	s_delay_alu instid0(VALU_DEP_3)
	v_lshlrev_b64_e32 v[20:21], 2, v[28:29]
	v_add_nc_u32_e32 v28, 0x9b4, v24
	ds_load_2addr_b32 v[22:23], v22 offset0:72 offset1:180
	s_wait_alu 0xfffd
	v_add_co_ci_u32_e32 v13, vcc_lo, v1, v13, vcc_lo
	v_add_co_u32 v14, vcc_lo, v0, v14
	v_lshlrev_b64_e32 v[25:26], 2, v[28:29]
	v_add_nc_u32_e32 v28, 0xa20, v24
	s_wait_alu 0xfffd
	v_add_co_ci_u32_e32 v15, vcc_lo, v1, v15, vcc_lo
	v_add_co_u32 v18, vcc_lo, v0, v18
	s_wait_alu 0xfffd
	v_add_co_ci_u32_e32 v19, vcc_lo, v1, v19, vcc_lo
	v_add_co_u32 v20, vcc_lo, v0, v20
	v_lshlrev_b64_e32 v[30:31], 2, v[28:29]
	v_add_nc_u32_e32 v28, 0xa8c, v24
	s_wait_alu 0xfffd
	v_add_co_ci_u32_e32 v21, vcc_lo, v1, v21, vcc_lo
	v_add_co_u32 v25, vcc_lo, v0, v25
	s_wait_alu 0xfffd
	v_add_co_ci_u32_e32 v26, vcc_lo, v1, v26, vcc_lo
	s_wait_dscnt 0x3
	s_clause 0x1
	global_store_b32 v[6:7], v2, off
	global_store_b32 v[4:5], v3, off
	s_wait_dscnt 0x2
	s_clause 0x1
	global_store_b32 v[8:9], v10, off
	global_store_b32 v[12:13], v11, off
	;; [unrolled: 4-line block ×4, first 2 shown]
	v_lshlrev_b64_e32 v[4:5], 2, v[28:29]
	v_add_nc_u32_e32 v28, 0xaf8, v24
	v_add_nc_u32_e32 v27, 0x2800, v32
	v_add_co_u32 v6, vcc_lo, v0, v30
	v_add_nc_u32_e32 v10, 0x2a00, v32
	s_delay_alu instid0(VALU_DEP_4)
	v_lshlrev_b64_e32 v[8:9], 2, v[28:29]
	v_add_nc_u32_e32 v28, 0xb64, v24
	s_wait_alu 0xfffd
	v_add_co_ci_u32_e32 v7, vcc_lo, v1, v31, vcc_lo
	v_add_nc_u32_e32 v14, 0x2e00, v32
	ds_load_2addr_b32 v[2:3], v27 offset0:32 offset1:140
	v_lshlrev_b64_e32 v[12:13], 2, v[28:29]
	v_add_nc_u32_e32 v28, 0xbd0, v24
	v_add_co_u32 v4, vcc_lo, v0, v4
	s_wait_alu 0xfffd
	v_add_co_ci_u32_e32 v5, vcc_lo, v1, v5, vcc_lo
	s_delay_alu instid0(VALU_DEP_3)
	v_lshlrev_b64_e32 v[16:17], 2, v[28:29]
	v_add_nc_u32_e32 v28, 0xc3c, v24
	ds_load_2addr_b32 v[10:11], v10 offset0:120 offset1:228
	v_add_co_u32 v8, vcc_lo, v0, v8
	ds_load_2addr_b32 v[14:15], v14 offset0:80 offset1:188
	s_wait_alu 0xfffd
	v_add_co_ci_u32_e32 v9, vcc_lo, v1, v9, vcc_lo
	v_add_co_u32 v12, vcc_lo, v0, v12
	v_lshlrev_b64_e32 v[18:19], 2, v[28:29]
	s_wait_alu 0xfffd
	v_add_co_ci_u32_e32 v13, vcc_lo, v1, v13, vcc_lo
	v_add_co_u32 v16, vcc_lo, v0, v16
	s_wait_alu 0xfffd
	v_add_co_ci_u32_e32 v17, vcc_lo, v1, v17, vcc_lo
	v_add_co_u32 v18, vcc_lo, v0, v18
	s_wait_alu 0xfffd
	v_add_co_ci_u32_e32 v19, vcc_lo, v1, v19, vcc_lo
	v_cmp_eq_u32_e32 vcc_lo, 0x6b, v24
	s_wait_dscnt 0x2
	s_clause 0x1
	global_store_b32 v[6:7], v2, off
	global_store_b32 v[4:5], v3, off
	s_wait_dscnt 0x1
	s_clause 0x1
	global_store_b32 v[8:9], v10, off
	global_store_b32 v[12:13], v11, off
	;; [unrolled: 4-line block ×3, first 2 shown]
	s_and_b32 exec_lo, exec_lo, vcc_lo
	s_cbranch_execz .LBB0_20
; %bb.19:
	v_mov_b32_e32 v2, 0
	ds_load_b32 v2, v2 offset:12960
	s_wait_dscnt 0x0
	global_store_b32 v[0:1], v2, off offset:12960
.LBB0_20:
	s_nop 0
	s_sendmsg sendmsg(MSG_DEALLOC_VGPRS)
	s_endpgm
	.section	.rodata,"a",@progbits
	.p2align	6, 0x0
	.amdhsa_kernel fft_rtc_fwd_len3240_factors_3_3_10_6_6_wgs_108_tpt_108_halfLds_half_op_CI_CI_unitstride_sbrr_R2C_dirReg
		.amdhsa_group_segment_fixed_size 0
		.amdhsa_private_segment_fixed_size 0
		.amdhsa_kernarg_size 104
		.amdhsa_user_sgpr_count 2
		.amdhsa_user_sgpr_dispatch_ptr 0
		.amdhsa_user_sgpr_queue_ptr 0
		.amdhsa_user_sgpr_kernarg_segment_ptr 1
		.amdhsa_user_sgpr_dispatch_id 0
		.amdhsa_user_sgpr_private_segment_size 0
		.amdhsa_wavefront_size32 1
		.amdhsa_uses_dynamic_stack 0
		.amdhsa_enable_private_segment 0
		.amdhsa_system_sgpr_workgroup_id_x 1
		.amdhsa_system_sgpr_workgroup_id_y 0
		.amdhsa_system_sgpr_workgroup_id_z 0
		.amdhsa_system_sgpr_workgroup_info 0
		.amdhsa_system_vgpr_workitem_id 0
		.amdhsa_next_free_vgpr 140
		.amdhsa_next_free_sgpr 39
		.amdhsa_reserve_vcc 1
		.amdhsa_float_round_mode_32 0
		.amdhsa_float_round_mode_16_64 0
		.amdhsa_float_denorm_mode_32 3
		.amdhsa_float_denorm_mode_16_64 3
		.amdhsa_fp16_overflow 0
		.amdhsa_workgroup_processor_mode 1
		.amdhsa_memory_ordered 1
		.amdhsa_forward_progress 0
		.amdhsa_round_robin_scheduling 0
		.amdhsa_exception_fp_ieee_invalid_op 0
		.amdhsa_exception_fp_denorm_src 0
		.amdhsa_exception_fp_ieee_div_zero 0
		.amdhsa_exception_fp_ieee_overflow 0
		.amdhsa_exception_fp_ieee_underflow 0
		.amdhsa_exception_fp_ieee_inexact 0
		.amdhsa_exception_int_div_zero 0
	.end_amdhsa_kernel
	.text
.Lfunc_end0:
	.size	fft_rtc_fwd_len3240_factors_3_3_10_6_6_wgs_108_tpt_108_halfLds_half_op_CI_CI_unitstride_sbrr_R2C_dirReg, .Lfunc_end0-fft_rtc_fwd_len3240_factors_3_3_10_6_6_wgs_108_tpt_108_halfLds_half_op_CI_CI_unitstride_sbrr_R2C_dirReg
                                        ; -- End function
	.section	.AMDGPU.csdata,"",@progbits
; Kernel info:
; codeLenInByte = 23156
; NumSgprs: 41
; NumVgprs: 140
; ScratchSize: 0
; MemoryBound: 0
; FloatMode: 240
; IeeeMode: 1
; LDSByteSize: 0 bytes/workgroup (compile time only)
; SGPRBlocks: 5
; VGPRBlocks: 17
; NumSGPRsForWavesPerEU: 41
; NumVGPRsForWavesPerEU: 140
; Occupancy: 10
; WaveLimiterHint : 1
; COMPUTE_PGM_RSRC2:SCRATCH_EN: 0
; COMPUTE_PGM_RSRC2:USER_SGPR: 2
; COMPUTE_PGM_RSRC2:TRAP_HANDLER: 0
; COMPUTE_PGM_RSRC2:TGID_X_EN: 1
; COMPUTE_PGM_RSRC2:TGID_Y_EN: 0
; COMPUTE_PGM_RSRC2:TGID_Z_EN: 0
; COMPUTE_PGM_RSRC2:TIDIG_COMP_CNT: 0
	.text
	.p2alignl 7, 3214868480
	.fill 96, 4, 3214868480
	.type	__hip_cuid_7525e09c863039f2,@object ; @__hip_cuid_7525e09c863039f2
	.section	.bss,"aw",@nobits
	.globl	__hip_cuid_7525e09c863039f2
__hip_cuid_7525e09c863039f2:
	.byte	0                               ; 0x0
	.size	__hip_cuid_7525e09c863039f2, 1

	.ident	"AMD clang version 19.0.0git (https://github.com/RadeonOpenCompute/llvm-project roc-6.4.0 25133 c7fe45cf4b819c5991fe208aaa96edf142730f1d)"
	.section	".note.GNU-stack","",@progbits
	.addrsig
	.addrsig_sym __hip_cuid_7525e09c863039f2
	.amdgpu_metadata
---
amdhsa.kernels:
  - .args:
      - .actual_access:  read_only
        .address_space:  global
        .offset:         0
        .size:           8
        .value_kind:     global_buffer
      - .offset:         8
        .size:           8
        .value_kind:     by_value
      - .actual_access:  read_only
        .address_space:  global
        .offset:         16
        .size:           8
        .value_kind:     global_buffer
      - .actual_access:  read_only
        .address_space:  global
        .offset:         24
        .size:           8
        .value_kind:     global_buffer
      - .actual_access:  read_only
        .address_space:  global
        .offset:         32
        .size:           8
        .value_kind:     global_buffer
      - .offset:         40
        .size:           8
        .value_kind:     by_value
      - .actual_access:  read_only
        .address_space:  global
        .offset:         48
        .size:           8
        .value_kind:     global_buffer
      - .actual_access:  read_only
        .address_space:  global
        .offset:         56
        .size:           8
        .value_kind:     global_buffer
      - .offset:         64
        .size:           4
        .value_kind:     by_value
      - .actual_access:  read_only
        .address_space:  global
        .offset:         72
        .size:           8
        .value_kind:     global_buffer
      - .actual_access:  read_only
        .address_space:  global
        .offset:         80
        .size:           8
        .value_kind:     global_buffer
      - .actual_access:  read_only
        .address_space:  global
        .offset:         88
        .size:           8
        .value_kind:     global_buffer
      - .actual_access:  write_only
        .address_space:  global
        .offset:         96
        .size:           8
        .value_kind:     global_buffer
    .group_segment_fixed_size: 0
    .kernarg_segment_align: 8
    .kernarg_segment_size: 104
    .language:       OpenCL C
    .language_version:
      - 2
      - 0
    .max_flat_workgroup_size: 108
    .name:           fft_rtc_fwd_len3240_factors_3_3_10_6_6_wgs_108_tpt_108_halfLds_half_op_CI_CI_unitstride_sbrr_R2C_dirReg
    .private_segment_fixed_size: 0
    .sgpr_count:     41
    .sgpr_spill_count: 0
    .symbol:         fft_rtc_fwd_len3240_factors_3_3_10_6_6_wgs_108_tpt_108_halfLds_half_op_CI_CI_unitstride_sbrr_R2C_dirReg.kd
    .uniform_work_group_size: 1
    .uses_dynamic_stack: false
    .vgpr_count:     140
    .vgpr_spill_count: 0
    .wavefront_size: 32
    .workgroup_processor_mode: 1
amdhsa.target:   amdgcn-amd-amdhsa--gfx1201
amdhsa.version:
  - 1
  - 2
...

	.end_amdgpu_metadata
